;; amdgpu-corpus repo=ROCm/rocFFT kind=compiled arch=gfx1201 opt=O3
	.text
	.amdgcn_target "amdgcn-amd-amdhsa--gfx1201"
	.amdhsa_code_object_version 6
	.protected	bluestein_single_back_len864_dim1_half_op_CI_CI ; -- Begin function bluestein_single_back_len864_dim1_half_op_CI_CI
	.globl	bluestein_single_back_len864_dim1_half_op_CI_CI
	.p2align	8
	.type	bluestein_single_back_len864_dim1_half_op_CI_CI,@function
bluestein_single_back_len864_dim1_half_op_CI_CI: ; @bluestein_single_back_len864_dim1_half_op_CI_CI
; %bb.0:
	s_load_b128 s[8:11], s[0:1], 0x28
	v_mul_u32_u24_e32 v1, 0x4be, v0
	s_mov_b32 s2, exec_lo
	v_mov_b32_e32 v30, 0
	s_delay_alu instid0(VALU_DEP_2) | instskip(NEXT) | instid1(VALU_DEP_1)
	v_lshrrev_b32_e32 v1, 16, v1
	v_add_nc_u32_e32 v29, ttmp9, v1
	s_wait_kmcnt 0x0
	s_delay_alu instid0(VALU_DEP_1)
	v_cmpx_gt_u64_e64 s[8:9], v[29:30]
	s_cbranch_execz .LBB0_31
; %bb.1:
	s_clause 0x1
	s_load_b128 s[4:7], s[0:1], 0x18
	s_load_b64 s[16:17], s[0:1], 0x0
	v_mul_lo_u16 v1, v1, 54
	s_delay_alu instid0(VALU_DEP_1) | instskip(NEXT) | instid1(VALU_DEP_1)
	v_sub_nc_u16 v9, v0, v1
	v_and_b32_e32 v85, 0xffff, v9
	s_delay_alu instid0(VALU_DEP_1)
	v_or_b32_e32 v79, 0x240, v85
	s_wait_kmcnt 0x0
	s_load_b128 s[12:15], s[4:5], 0x0
	s_wait_kmcnt 0x0
	v_mad_co_u64_u32 v[0:1], null, s14, v29, 0
	v_mad_co_u64_u32 v[2:3], null, s12, v85, 0
	;; [unrolled: 1-line block ×3, first 2 shown]
	s_mul_u64 s[2:3], s[12:13], 0x120
	s_delay_alu instid0(VALU_DEP_2) | instskip(NEXT) | instid1(VALU_DEP_2)
	v_mad_co_u64_u32 v[6:7], null, s15, v29, v[1:2]
	v_mad_co_u64_u32 v[7:8], null, s13, v85, v[3:4]
	v_lshlrev_b32_e32 v60, 2, v85
	s_lshl_b64 s[14:15], s[2:3], 2
	s_mul_i32 s2, s13, 0xfffffc58
	s_delay_alu instid0(VALU_DEP_3) | instskip(SKIP_1) | instid1(VALU_DEP_4)
	v_mov_b32_e32 v1, v6
	v_mad_co_u64_u32 v[5:6], null, s13, v79, v[5:6]
	v_mov_b32_e32 v3, v7
	s_clause 0x1
	global_load_b32 v81, v60, s[16:17] offset:1368
	global_load_b32 v74, v60, s[16:17] offset:1584
	v_lshlrev_b64_e32 v[0:1], 2, v[0:1]
	s_clause 0x6
	global_load_b32 v87, v60, s[16:17]
	global_load_b32 v83, v60, s[16:17] offset:216
	global_load_b32 v76, v60, s[16:17] offset:432
	;; [unrolled: 1-line block ×6, first 2 shown]
	v_lshlrev_b64_e32 v[2:3], 2, v[2:3]
	s_clause 0x5
	global_load_b32 v80, v60, s[16:17] offset:2520
	global_load_b32 v73, v60, s[16:17] offset:2736
	;; [unrolled: 1-line block ×6, first 2 shown]
	v_add_co_u32 v6, vcc_lo, s10, v0
	v_add_co_ci_u32_e32 v7, vcc_lo, s11, v1, vcc_lo
	s_sub_co_i32 s2, s2, s12
	s_delay_alu instid0(VALU_DEP_2) | instskip(SKIP_1) | instid1(VALU_DEP_2)
	v_add_co_u32 v0, vcc_lo, v6, v2
	s_wait_alu 0xfffd
	v_add_co_ci_u32_e32 v1, vcc_lo, v7, v3, vcc_lo
	v_lshlrev_b64_e32 v[2:3], 2, v[4:5]
	s_wait_alu 0xfffe
	v_add_co_u32 v4, vcc_lo, v0, s14
	s_wait_alu 0xfffd
	v_add_co_ci_u32_e32 v5, vcc_lo, s15, v1, vcc_lo
	s_delay_alu instid0(VALU_DEP_3)
	v_add_co_u32 v2, vcc_lo, v6, v2
	global_load_b32 v6, v[0:1], off
	v_mad_co_u64_u32 v[0:1], null, 0xfffffc58, s12, v[4:5]
	s_wait_alu 0xfffd
	v_add_co_ci_u32_e32 v3, vcc_lo, v7, v3, vcc_lo
	s_clause 0x1
	global_load_b32 v7, v[4:5], off
	global_load_b32 v8, v[2:3], off
	v_add_nc_u32_e32 v4, 0x400, v60
	v_add_nc_u32_e32 v1, s2, v1
	s_movk_i32 s2, 0xfdf6
	s_mov_b32 s3, -1
	v_add_nc_u32_e32 v5, 0x800, v60
	s_wait_alu 0xfffe
	s_mul_u64 s[2:3], s[12:13], s[2:3]
	global_load_b32 v10, v[0:1], off
	v_add_co_u32 v0, vcc_lo, v0, s14
	s_wait_alu 0xfffd
	v_add_co_ci_u32_e32 v1, vcc_lo, s15, v1, vcc_lo
	s_wait_alu 0xfffe
	s_lshl_b64 s[2:3], s[2:3], 2
	v_add_co_u32 v2, vcc_lo, v0, s14
	s_wait_alu 0xfffd
	v_add_co_ci_u32_e32 v3, vcc_lo, s15, v1, vcc_lo
	global_load_b32 v11, v[0:1], off
	s_wait_alu 0xfffe
	v_add_co_u32 v0, vcc_lo, v2, s2
	s_wait_alu 0xfffd
	v_add_co_ci_u32_e32 v1, vcc_lo, s3, v3, vcc_lo
	global_load_b32 v12, v[2:3], off
	global_load_b32 v13, v[0:1], off
	v_add_co_u32 v0, vcc_lo, v0, s14
	s_wait_alu 0xfffd
	v_add_co_ci_u32_e32 v1, vcc_lo, s15, v1, vcc_lo
	s_delay_alu instid0(VALU_DEP_2) | instskip(SKIP_1) | instid1(VALU_DEP_2)
	v_add_co_u32 v2, vcc_lo, v0, s14
	s_wait_alu 0xfffd
	v_add_co_ci_u32_e32 v3, vcc_lo, s15, v1, vcc_lo
	global_load_b32 v14, v[0:1], off
	v_add_co_u32 v0, vcc_lo, v2, s2
	s_wait_alu 0xfffd
	v_add_co_ci_u32_e32 v1, vcc_lo, s3, v3, vcc_lo
	global_load_b32 v15, v[2:3], off
	global_load_b32 v16, v[0:1], off
	v_add_co_u32 v0, vcc_lo, v0, s14
	s_wait_alu 0xfffd
	v_add_co_ci_u32_e32 v1, vcc_lo, s15, v1, vcc_lo
	s_delay_alu instid0(VALU_DEP_2) | instskip(SKIP_1) | instid1(VALU_DEP_2)
	v_add_co_u32 v2, vcc_lo, v0, s14
	s_wait_alu 0xfffd
	v_add_co_ci_u32_e32 v3, vcc_lo, s15, v1, vcc_lo
	global_load_b32 v17, v[0:1], off
	v_add_co_u32 v0, vcc_lo, v2, s2
	s_wait_alu 0xfffd
	v_add_co_ci_u32_e32 v1, vcc_lo, s3, v3, vcc_lo
	global_load_b32 v18, v[2:3], off
	;; [unrolled: 4-line block ×4, first 2 shown]
	global_load_b32 v3, v[0:1], off
	s_load_b64 s[4:5], s[0:1], 0x38
	s_load_b128 s[8:11], s[6:7], 0x0
	v_add_co_u32 v27, s6, s16, v60
	s_delay_alu instid0(VALU_DEP_1)
	v_add_co_ci_u32_e64 v28, null, s17, 0, s6
	v_cmp_gt_u16_e32 vcc_lo, 18, v9
	s_wait_loadcnt 0x1b
	v_lshrrev_b32_e32 v92, 16, v87
	s_wait_loadcnt 0x1a
	v_lshrrev_b32_e32 v86, 16, v83
	v_lshrrev_b32_e32 v84, 16, v81
	s_wait_loadcnt 0x16
	v_lshrrev_b32_e32 v91, 16, v88
	s_wait_loadcnt 0x14
	v_lshrrev_b32_e32 v82, 16, v80
	v_lshrrev_b32_e32 v78, 16, v76
	s_wait_loadcnt 0x10
	v_lshrrev_b32_e32 v90, 16, v89
	v_lshrrev_b32_e32 v77, 16, v74
	;; [unrolled: 1-line block ×7, first 2 shown]
	s_wait_loadcnt 0xf
	v_lshrrev_b32_e32 v64, 16, v62
	v_lshrrev_b32_e32 v63, 16, v61
	s_wait_loadcnt 0xe
	v_lshrrev_b32_e32 v20, 16, v6
	v_mul_f16_e32 v21, v92, v6
	s_delay_alu instid0(VALU_DEP_2)
	v_mul_f16_e32 v22, v92, v20
	s_wait_loadcnt 0xd
	v_lshrrev_b32_e32 v23, 16, v7
	s_wait_loadcnt 0xc
	v_lshrrev_b32_e32 v24, 16, v8
	v_fma_f16 v20, v87, v20, -v21
	v_mul_f16_e32 v21, v91, v7
	v_mul_f16_e32 v25, v90, v8
	;; [unrolled: 1-line block ×4, first 2 shown]
	v_fmac_f16_e32 v22, v87, v6
	v_fma_f16 v6, v88, v23, -v21
	v_fma_f16 v21, v89, v24, -v25
	v_fmac_f16_e32 v26, v88, v7
	v_fmac_f16_e32 v30, v89, v8
	s_wait_loadcnt 0xb
	v_lshrrev_b32_e32 v7, 16, v10
	v_mul_f16_e32 v8, v86, v10
	v_pack_b32_f16 v20, v22, v20
	v_pack_b32_f16 v6, v26, v6
	;; [unrolled: 1-line block ×3, first 2 shown]
	v_mul_f16_e32 v22, v86, v7
	v_fma_f16 v7, v83, v7, -v8
	s_wait_loadcnt 0xa
	v_lshrrev_b32_e32 v8, 16, v11
	v_mul_f16_e32 v23, v84, v11
	ds_store_b32 v60, v6 offset:1152
	ds_store_b32 v60, v21 offset:2304
	v_fmac_f16_e32 v22, v83, v10
	v_mul_f16_e32 v6, v84, v8
	s_wait_loadcnt 0x9
	v_lshrrev_b32_e32 v10, 16, v12
	v_mul_f16_e32 v21, v82, v12
	v_fma_f16 v8, v81, v8, -v23
	v_pack_b32_f16 v7, v22, v7
	v_fmac_f16_e32 v6, v81, v11
	v_mul_f16_e32 v11, v82, v10
	v_fma_f16 v10, v80, v10, -v21
	s_wait_loadcnt 0x8
	v_lshrrev_b32_e32 v21, 16, v13
	v_mul_f16_e32 v22, v78, v13
	ds_store_2addr_b32 v60, v20, v7 offset1:54
	v_pack_b32_f16 v6, v6, v8
	v_fmac_f16_e32 v11, v80, v12
	v_mul_f16_e32 v7, v78, v21
	s_wait_loadcnt 0x7
	v_lshrrev_b32_e32 v8, 16, v14
	v_fma_f16 v12, v76, v21, -v22
	v_mul_f16_e32 v20, v77, v14
	v_pack_b32_f16 v10, v11, v10
	v_fmac_f16_e32 v7, v76, v13
	v_mul_f16_e32 v11, v77, v8
	s_wait_loadcnt 0x6
	v_lshrrev_b32_e32 v13, 16, v15
	v_fma_f16 v8, v74, v8, -v20
	v_mul_f16_e32 v20, v75, v15
	v_pack_b32_f16 v7, v7, v12
	v_fmac_f16_e32 v11, v74, v14
	v_mul_f16_e32 v12, v75, v13
	s_wait_loadcnt 0x5
	v_lshrrev_b32_e32 v14, 16, v16
	v_mul_f16_e32 v21, v72, v16
	v_fma_f16 v13, v73, v13, -v20
	v_pack_b32_f16 v8, v11, v8
	v_fmac_f16_e32 v12, v73, v15
	v_mul_f16_e32 v11, v72, v14
	s_wait_loadcnt 0x4
	v_lshrrev_b32_e32 v15, 16, v17
	v_mul_f16_e32 v20, v71, v17
	v_fma_f16 v14, v70, v14, -v21
	ds_store_2addr_b32 v4, v6, v8 offset0:86 offset1:140
	v_pack_b32_f16 v6, v12, v13
	v_fmac_f16_e32 v11, v70, v16
	v_mul_f16_e32 v8, v71, v15
	s_wait_loadcnt 0x3
	v_lshrrev_b32_e32 v12, 16, v18
	v_fma_f16 v13, v69, v15, -v20
	v_mul_f16_e32 v15, v68, v18
	ds_store_2addr_b32 v5, v10, v6 offset0:118 offset1:172
	v_pack_b32_f16 v6, v11, v14
	s_wait_loadcnt 0x2
	v_lshrrev_b32_e32 v11, 16, v19
	v_mul_f16_e32 v10, v68, v12
	v_fma_f16 v12, v67, v12, -v15
	v_mul_f16_e32 v14, v66, v19
	s_wait_loadcnt 0x1
	v_lshrrev_b32_e32 v15, 16, v2
	v_fmac_f16_e32 v8, v69, v17
	s_wait_loadcnt 0x0
	v_lshrrev_b32_e32 v17, 16, v3
	v_mul_f16_e32 v16, v66, v11
	v_fmac_f16_e32 v10, v67, v18
	v_fma_f16 v11, v65, v11, -v14
	v_mul_f16_e32 v14, v64, v2
	v_mul_f16_e32 v18, v64, v15
	;; [unrolled: 1-line block ×4, first 2 shown]
	v_fmac_f16_e32 v16, v65, v19
	v_fma_f16 v14, v62, v15, -v14
	v_fmac_f16_e32 v18, v62, v2
	v_fma_f16 v2, v61, v17, -v20
	v_fmac_f16_e32 v21, v61, v3
	v_pack_b32_f16 v3, v8, v13
	v_pack_b32_f16 v8, v10, v12
	;; [unrolled: 1-line block ×5, first 2 shown]
	v_add_nc_u32_e32 v12, 0xa00, v60
	ds_store_2addr_b32 v60, v7, v6 offset0:108 offset1:162
	ds_store_b32 v60, v10 offset:864
	ds_store_2addr_b32 v4, v3, v11 offset0:194 offset1:248
	ds_store_2addr_b32 v12, v8, v2 offset0:98 offset1:152
	s_and_saveexec_b32 s6, vcc_lo
	s_cbranch_execz .LBB0_3
; %bb.2:
	v_add_co_u32 v0, s2, v0, s2
	s_wait_alu 0xf1ff
	v_add_co_ci_u32_e64 v1, s2, s3, v1, s2
	global_load_b32 v8, v[27:28], off offset:1080
	v_add_co_u32 v2, s2, v0, s14
	s_wait_alu 0xf1ff
	v_add_co_ci_u32_e64 v3, s2, s15, v1, s2
	s_delay_alu instid0(VALU_DEP_2) | instskip(SKIP_1) | instid1(VALU_DEP_2)
	v_add_co_u32 v6, s2, v2, s14
	s_wait_alu 0xf1ff
	v_add_co_ci_u32_e64 v7, s2, s15, v3, s2
	global_load_b32 v9, v[27:28], off offset:2232
	global_load_b32 v0, v[0:1], off
	global_load_b32 v1, v[27:28], off offset:3384
	global_load_b32 v2, v[2:3], off
	global_load_b32 v3, v[6:7], off
	s_wait_loadcnt 0x5
	v_lshrrev_b32_e32 v6, 16, v8
	s_wait_loadcnt 0x4
	v_lshrrev_b32_e32 v7, 16, v9
	s_wait_loadcnt 0x3
	v_lshrrev_b32_e32 v10, 16, v0
	v_mul_f16_e32 v11, v6, v0
	s_wait_loadcnt 0x1
	v_lshrrev_b32_e32 v13, 16, v2
	v_lshrrev_b32_e32 v12, 16, v1
	s_wait_loadcnt 0x0
	v_lshrrev_b32_e32 v14, 16, v3
	v_mul_f16_e32 v6, v6, v10
	v_fma_f16 v10, v8, v10, -v11
	v_mul_f16_e32 v11, v7, v2
	v_mul_f16_e32 v7, v7, v13
	;; [unrolled: 1-line block ×4, first 2 shown]
	v_fmac_f16_e32 v6, v8, v0
	v_fma_f16 v0, v9, v13, -v11
	v_fmac_f16_e32 v7, v9, v2
	v_fmac_f16_e32 v15, v1, v3
	v_fma_f16 v1, v1, v14, -v12
	v_pack_b32_f16 v2, v6, v10
	s_delay_alu instid0(VALU_DEP_4) | instskip(NEXT) | instid1(VALU_DEP_3)
	v_pack_b32_f16 v0, v7, v0
	v_pack_b32_f16 v1, v15, v1
	ds_store_b32 v60, v2 offset:1080
	ds_store_b32 v60, v0 offset:2232
	;; [unrolled: 1-line block ×3, first 2 shown]
.LBB0_3:
	s_wait_alu 0xfffe
	s_or_b32 exec_lo, exec_lo, s6
	v_add_nc_u32_e32 v0, 0x200, v60
	global_wb scope:SCOPE_SE
	s_wait_dscnt 0x0
	s_wait_kmcnt 0x0
	s_barrier_signal -1
	s_barrier_wait -1
	global_inv scope:SCOPE_SE
	ds_load_2addr_b32 v[10:11], v60 offset1:54
	ds_load_2addr_b32 v[13:14], v0 offset0:88 offset1:160
	ds_load_2addr_b32 v[8:9], v5 offset0:64 offset1:118
	;; [unrolled: 1-line block ×6, first 2 shown]
	ds_load_b32 v12, v60 offset:3168
                                        ; implicit-def: $vgpr15
                                        ; implicit-def: $vgpr16
                                        ; implicit-def: $vgpr17
	s_and_saveexec_b32 s2, vcc_lo
	s_cbranch_execz .LBB0_5
; %bb.4:
	ds_load_b32 v17, v60 offset:1080
	ds_load_b32 v16, v60 offset:2232
	;; [unrolled: 1-line block ×3, first 2 shown]
.LBB0_5:
	s_wait_alu 0xfffe
	s_or_b32 exec_lo, exec_lo, s2
	v_add_co_u32 v37, s2, v85, 54
	s_wait_alu 0xf1ff
	v_add_co_ci_u32_e64 v18, null, 0, 0, s2
	s_wait_dscnt 0x0
	v_pk_add_f16 v18, v16, v15
	v_pk_add_f16 v19, v5, v12
	v_pk_add_f16 v23, v5, v12 neg_lo:[0,1] neg_hi:[0,1]
	v_pk_add_f16 v5, v13, v5
	v_pk_add_f16 v25, v16, v15 neg_lo:[0,1] neg_hi:[0,1]
	v_pk_fma_f16 v24, v18, 0.5, v17 op_sel_hi:[1,0,1] neg_lo:[1,0,0] neg_hi:[1,0,0]
	v_pk_fma_f16 v18, v19, 0.5, v13 op_sel_hi:[1,0,1] neg_lo:[1,0,0] neg_hi:[1,0,0]
	v_pk_mul_f16 v19, 0x3aee, v23 op_sel_hi:[0,1]
	v_pk_add_f16 v16, v16, v17
	v_pk_add_f16 v20, v10, v14
	;; [unrolled: 1-line block ×3, first 2 shown]
	v_mul_lo_u16 v5, v85, 3
	v_pk_add_f16 v13, v18, v19 op_sel:[0,1] op_sel_hi:[1,0]
	v_pk_add_f16 v18, v18, v19 op_sel:[0,1] op_sel_hi:[1,0] neg_lo:[0,1] neg_hi:[0,1]
	v_pk_add_f16 v19, v15, v16
	v_pk_add_f16 v15, v14, v8
	v_pk_add_f16 v14, v14, v8 neg_lo:[0,1] neg_hi:[0,1]
	v_pk_add_f16 v21, v11, v6
	v_and_b32_e32 v5, 0xffff, v5
	v_pk_add_f16 v22, v2, v7
	v_pk_fma_f16 v10, v15, 0.5, v10 op_sel_hi:[1,0,1] neg_lo:[1,0,0] neg_hi:[1,0,0]
	v_pk_add_f16 v15, v6, v9
	v_pk_add_f16 v6, v6, v9 neg_lo:[0,1] neg_hi:[0,1]
	v_pk_mul_f16 v14, 0x3aee, v14 op_sel_hi:[0,1]
	v_lshlrev_b32_e32 v99, 2, v5
	v_pk_add_f16 v8, v20, v8
	v_pk_fma_f16 v5, v15, 0.5, v11 op_sel_hi:[1,0,1] neg_lo:[1,0,0] neg_hi:[1,0,0]
	v_pk_mul_f16 v6, 0x3aee, v6 op_sel_hi:[0,1]
	v_pk_add_f16 v11, v10, v14 op_sel:[0,1] op_sel_hi:[1,0]
	v_pk_add_f16 v10, v10, v14 op_sel:[0,1] op_sel_hi:[1,0] neg_lo:[0,1] neg_hi:[0,1]
	v_mul_u32_u24_e32 v14, 3, v37
	v_add_co_u32 v36, null, 0x6c, v85
	v_pk_add_f16 v15, v5, v6 op_sel:[0,1] op_sel_hi:[1,0]
	v_pk_add_f16 v5, v5, v6 op_sel:[0,1] op_sel_hi:[1,0] neg_lo:[0,1] neg_hi:[0,1]
	v_bfi_b32 v6, 0xffff, v11, v10
	v_lshlrev_b32_e32 v97, 2, v14
	v_pk_add_f16 v14, v7, v0
	v_pk_add_f16 v7, v7, v0 neg_lo:[0,1] neg_hi:[0,1]
	v_bfi_b32 v10, 0xffff, v10, v11
	global_wb scope:SCOPE_SE
	s_barrier_signal -1
	s_barrier_wait -1
	global_inv scope:SCOPE_SE
	v_pk_add_f16 v9, v21, v9
	v_bfi_b32 v11, 0xffff, v15, v5
	ds_store_2addr_b32 v99, v8, v6 offset1:1
	ds_store_b32 v99, v10 offset:8
	v_pk_fma_f16 v2, v14, 0.5, v2 op_sel_hi:[1,0,1] neg_lo:[1,0,0] neg_hi:[1,0,0]
	v_pk_mul_f16 v6, 0x3aee, v7 op_sel_hi:[0,1]
	v_bfi_b32 v5, 0xffff, v5, v15
	v_pk_add_f16 v23, v3, v4
	ds_store_2addr_b32 v97, v9, v11 offset1:1
	ds_store_b32 v97, v5 offset:8
	v_mul_u32_u24_e32 v5, 3, v36
	v_pk_add_f16 v7, v4, v1
	v_pk_add_f16 v4, v4, v1 neg_lo:[0,1] neg_hi:[0,1]
	v_pk_add_f16 v8, v2, v6 op_sel:[0,1] op_sel_hi:[1,0]
	v_pk_add_f16 v2, v2, v6 op_sel:[0,1] op_sel_hi:[1,0] neg_lo:[0,1] neg_hi:[0,1]
	v_add_co_u32 v35, null, 0xa2, v85
	v_add_co_u32 v34, null, 0xd8, v85
	v_lshlrev_b32_e32 v98, 2, v5
	v_pk_fma_f16 v3, v7, 0.5, v3 op_sel_hi:[1,0,1] neg_lo:[1,0,0] neg_hi:[1,0,0]
	v_pk_mul_f16 v4, 0x3aee, v4 op_sel_hi:[0,1]
	v_pk_add_f16 v0, v22, v0
	v_bfi_b32 v5, 0xffff, v8, v2
	v_bfi_b32 v2, 0xffff, v2, v8
	v_add_co_u32 v56, s2, 0x10e, v85
	v_pk_fma_f16 v26, 0x3aee, v25, v24 op_sel:[0,0,1] op_sel_hi:[0,1,0]
	v_mul_u32_u24_e32 v6, 3, v35
	v_pk_add_f16 v7, v3, v4 op_sel:[0,1] op_sel_hi:[1,0]
	v_pk_add_f16 v3, v3, v4 op_sel:[0,1] op_sel_hi:[1,0] neg_lo:[0,1] neg_hi:[0,1]
	ds_store_2addr_b32 v98, v0, v5 offset1:1
	ds_store_b32 v98, v2 offset:8
	v_mul_u32_u24_e32 v0, 3, v34
	s_wait_alu 0xf1ff
	v_add_co_ci_u32_e64 v57, null, 0, 0, s2
	v_lshrrev_b32_e32 v16, 16, v26
	v_pk_fma_f16 v38, 0x3aee, v25, v24 op_sel:[0,0,1] op_sel_hi:[0,1,0] neg_lo:[0,1,0] neg_hi:[0,1,0]
	v_lshlrev_b32_e32 v100, 2, v6
	v_pk_add_f16 v1, v23, v1
	v_bfi_b32 v2, 0xffff, v7, v3
	v_lshlrev_b32_e32 v102, 2, v0
	v_mul_u32_u24_e32 v101, 3, v56
	v_bfi_b32 v3, 0xffff, v3, v7
	v_bfi_b32 v0, 0xffff, v18, v13
	;; [unrolled: 1-line block ×3, first 2 shown]
	ds_store_2addr_b32 v100, v1, v2 offset1:1
	ds_store_b32 v100, v3 offset:8
	ds_store_b32 v102, v12
	ds_store_2addr_b32 v102, v4, v0 offset0:1 offset1:2
	s_and_saveexec_b32 s2, vcc_lo
	s_cbranch_execz .LBB0_7
; %bb.6:
	v_lshlrev_b32_e32 v0, 2, v101
	v_perm_b32 v1, v38, v16, 0x5040100
	v_alignbit_b32 v2, v26, v38, 16
	ds_store_b32 v0, v19
	ds_store_2addr_b32 v0, v1, v2 offset0:1 offset1:2
.LBB0_7:
	s_wait_alu 0xfffe
	s_or_b32 exec_lo, exec_lo, s2
	v_add_nc_u32_e32 v1, 0x400, v60
	v_add_nc_u32_e32 v2, 0x800, v60
	;; [unrolled: 1-line block ×3, first 2 shown]
	global_wb scope:SCOPE_SE
	s_wait_dscnt 0x0
	s_barrier_signal -1
	s_barrier_wait -1
	global_inv scope:SCOPE_SE
	ds_load_2addr_b32 v[14:15], v60 offset1:54
	ds_load_2addr_b32 v[32:33], v60 offset0:144 offset1:198
	ds_load_2addr_b32 v[30:31], v1 offset0:32 offset1:86
	;; [unrolled: 1-line block ×5, first 2 shown]
	s_load_b64 s[2:3], s[0:1], 0x8
	v_lshrrev_b32_e32 v39, 16, v13
	v_cmp_gt_u16_e64 s0, 36, v85
	s_delay_alu instid0(VALU_DEP_1)
	s_and_saveexec_b32 s1, s0
	s_cbranch_execz .LBB0_9
; %bb.8:
	v_add_nc_u32_e32 v1, 0x600, v60
	ds_load_2addr_b32 v[16:17], v0 offset0:44 offset1:188
	ds_load_2addr_b32 v[18:19], v1 offset0:12 offset1:156
	;; [unrolled: 1-line block ×3, first 2 shown]
	s_wait_dscnt 0x2
	v_lshrrev_b32_e32 v26, 16, v17
	v_alignbit_b32 v38, v17, v16, 16
	s_wait_dscnt 0x1
	v_lshrrev_b32_e32 v39, 16, v18
	s_wait_dscnt 0x0
	v_bfi_b32 v18, 0xffff, v18, v13
.LBB0_9:
	s_wait_alu 0xfffe
	s_or_b32 exec_lo, exec_lo, s1
	v_and_b32_e32 v17, 0xff, v85
	v_and_b32_e32 v0, 0xff, v37
	;; [unrolled: 1-line block ×3, first 2 shown]
	s_wait_dscnt 0x4
	v_lshrrev_b32_e32 v48, 16, v32
	s_wait_dscnt 0x2
	v_lshrrev_b32_e32 v50, 16, v24
	v_mul_lo_u16 v1, 0xab, v17
	v_mul_lo_u16 v0, 0xab, v0
	s_wait_dscnt 0x0
	v_lshrrev_b32_e32 v52, 16, v20
	v_lshrrev_b32_e32 v49, 16, v30
	;; [unrolled: 1-line block ×3, first 2 shown]
	v_lshrrev_b16 v42, 9, v1
	v_mul_lo_u16 v1, 0xab, v2
	v_lshrrev_b16 v43, 9, v0
	v_lshrrev_b32_e32 v55, 16, v31
	v_lshrrev_b32_e32 v58, 16, v25
	v_mul_lo_u16 v0, v42, 3
	v_lshrrev_b16 v44, 9, v1
	v_mul_lo_u16 v1, v43, 3
	v_lshrrev_b32_e32 v59, 16, v23
	v_lshrrev_b32_e32 v106, 16, v21
	v_sub_nc_u16 v0, v85, v0
	v_mul_lo_u16 v2, v44, 3
	v_sub_nc_u16 v1, v37, v1
	v_lshrrev_b32_e32 v123, 16, v19
	v_lshrrev_b32_e32 v124, 16, v38
	v_and_b32_e32 v45, 0xff, v0
	v_sub_nc_u16 v2, v36, v2
	v_and_b32_e32 v46, 0xff, v1
	v_lshrrev_b32_e32 v54, 16, v33
	v_lshrrev_b32_e32 v122, 16, v18
	s_wait_kmcnt 0x0
	v_mad_co_u64_u32 v[0:1], null, v45, 20, s[2:3]
	v_and_b32_e32 v93, 0xff, v2
	v_mad_co_u64_u32 v[2:3], null, v46, 20, s[2:3]
	v_and_b32_e32 v94, 0xffff, v44
	v_lshrrev_b32_e32 v47, 16, v14
	s_delay_alu instid0(VALU_DEP_4)
	v_mad_co_u64_u32 v[40:41], null, v93, 20, s[2:3]
	s_clause 0x5
	global_load_b128 v[8:11], v[0:1], off
	global_load_b32 v105, v[0:1], off offset:16
	global_load_b128 v[4:7], v[2:3], off
	global_load_b32 v104, v[2:3], off offset:16
	;; [unrolled: 2-line block ×3, first 2 shown]
	v_and_b32_e32 v41, 0xffff, v43
	v_and_b32_e32 v40, 0xffff, v42
	v_lshrrev_b32_e32 v53, 16, v15
	global_wb scope:SCOPE_SE
	s_wait_loadcnt 0x0
	s_barrier_signal -1
	v_mul_u32_u24_e32 v41, 18, v41
	v_mul_u32_u24_e32 v42, 18, v40
	v_lshrrev_b32_e32 v40, 16, v12
	s_barrier_wait -1
	global_inv scope:SCOPE_SE
	v_add_lshl_u32 v95, v41, v46, 2
	v_add_lshl_u32 v96, v42, v45, 2
	v_lshrrev_b32_e32 v117, 16, v105
	v_lshrrev_b32_e32 v121, 16, v8
	;; [unrolled: 1-line block ×13, first 2 shown]
	v_mul_f16_e32 v46, v48, v121
	v_mul_f16_e64 v128, v50, v119
	v_mul_f16_e64 v129, v24, v119
	;; [unrolled: 1-line block ×4, first 2 shown]
	v_lshrrev_b32_e32 v108, 16, v3
	v_mul_f16_e32 v125, v32, v121
	v_mul_f16_e32 v126, v49, v120
	;; [unrolled: 1-line block ×3, first 2 shown]
	v_mul_f16_e64 v130, v51, v118
	v_mul_f16_e64 v131, v22, v118
	;; [unrolled: 1-line block ×10, first 2 shown]
	v_lshrrev_b32_e32 v111, 16, v0
	v_mul_f16_e64 v135, v33, v116
	v_mul_f16_e64 v145, v39, v110
	;; [unrolled: 1-line block ×3, first 2 shown]
	v_mul_f16_e32 v44, v19, v109
	v_mul_f16_e64 v148, v26, v107
	v_mul_f16_e32 v45, v124, v107
	v_fma_f16 v32, v32, v8, -v46
	v_fma_f16 v24, v24, v10, -v128
	v_fmac_f16_e64 v129, v50, v10
	v_fmac_f16_e64 v133, v52, v105
	v_fma_f16 v46, v20, v105, -v132
	v_mul_f16_e64 v134, v54, v116
	v_mul_f16_e32 v43, v16, v108
	v_fma_f16 v30, v30, v9, -v126
	v_fma_f16 v31, v31, v5, -v136
	;; [unrolled: 1-line block ×3, first 2 shown]
	v_fmac_f16_e32 v125, v48, v8
	v_fmac_f16_e32 v127, v49, v9
	v_fmac_f16_e64 v131, v51, v11
	v_fmac_f16_e64 v137, v55, v5
	;; [unrolled: 1-line block ×3, first 2 shown]
	v_fma_f16 v22, v22, v11, -v130
	v_fma_f16 v23, v23, v7, -v140
	v_fmac_f16_e64 v141, v59, v7
	v_fma_f16 v21, v21, v104, -v142
	v_fmac_f16_e64 v143, v106, v104
	v_mul_f16_e64 v147, v38, v108
	v_mul_f16_e64 v144, v122, v111
	v_mul_f16_e32 v41, v13, v111
	v_mul_f16_e32 v42, v18, v110
	v_fmac_f16_e64 v135, v54, v4
	v_fma_f16 v20, v18, v1, -v145
	v_fma_f16 v19, v19, v2, -v146
	v_fmac_f16_e32 v44, v123, v2
	v_fma_f16 v18, v124, v103, -v148
	v_fmac_f16_e32 v45, v26, v103
	v_add_f16_e32 v51, v24, v46
	v_add_f16_e64 v55, v129, v133
	v_fma_f16 v33, v33, v4, -v134
	v_fmac_f16_e32 v43, v38, v3
	v_add_f16_e32 v26, v14, v30
	v_add_f16_e32 v38, v30, v22
	;; [unrolled: 1-line block ×3, first 2 shown]
	v_add_f16_e64 v49, v127, v131
	v_sub_f16_e64 v52, v129, v133
	v_add_f16_e64 v54, v125, v129
	v_add_f16_e32 v59, v31, v23
	v_add_f16_e64 v123, v137, v141
	v_add_f16_e32 v126, v25, v21
	v_add_f16_e64 v129, v139, v143
	v_fma_f16 v16, v16, v3, -v147
	v_fma_f16 v13, v13, v0, -v144
	v_fmac_f16_e32 v41, v122, v0
	v_fmac_f16_e32 v42, v39, v1
	v_sub_f16_e64 v39, v127, v131
	v_add_f16_e32 v50, v32, v24
	v_sub_f16_e32 v24, v24, v46
	v_sub_f16_e64 v106, v137, v141
	v_add_f16_e64 v122, v53, v137
	v_sub_f16_e64 v127, v139, v143
	v_add_f16_e64 v128, v135, v139
	v_add_f16_e64 v137, v19, v18
	;; [unrolled: 1-line block ×3, first 2 shown]
	v_fmac_f16_e32 v32, -0.5, v51
	v_fmac_f16_e32 v125, -0.5, v55
	v_sub_f16_e32 v30, v30, v22
	v_add_f16_e32 v58, v15, v31
	v_sub_f16_e32 v31, v31, v23
	v_add_f16_e32 v124, v33, v25
	;; [unrolled: 2-line block ×3, first 2 shown]
	v_add_f16_e64 v26, v48, v131
	v_fmac_f16_e32 v47, -0.5, v49
	v_add_f16_e64 v48, v54, v133
	v_fma_f16 v38, -0.5, v38, v14
	v_fmac_f16_e32 v15, -0.5, v59
	v_fmac_f16_e32 v53, -0.5, v123
	v_fmac_f16_e32 v33, -0.5, v126
	v_fmac_f16_e64 v135, -0.5, v129
	v_add_f16_e64 v130, v20, v16
	v_add_f16_e64 v134, v42, v43
	v_sub_f16_e64 v138, v44, v45
	v_sub_f16_e64 v140, v19, v18
	v_add_f16_e32 v46, v50, v46
	v_add_f16_e64 v49, v122, v141
	v_add_f16_e64 v51, v128, v143
	v_fma_f16 v54, -0.5, v137, v13
	v_fma_f16 v55, -0.5, v139, v41
	v_fmamk_f16 v59, v52, 0x3aee, v32
	v_fmac_f16_e32 v32, 0xbaee, v52
	v_fmamk_f16 v52, v24, 0xbaee, v125
	v_fmac_f16_e32 v125, 0x3aee, v24
	v_add_f16_e32 v23, v58, v23
	v_fmamk_f16 v58, v39, 0x3aee, v38
	v_fmac_f16_e32 v38, 0xbaee, v39
	v_fmamk_f16 v39, v30, 0xbaee, v47
	v_fmac_f16_e32 v47, 0x3aee, v30
	v_add_f16_e32 v30, v26, v48
	v_sub_f16_e32 v26, v26, v48
	v_fmamk_f16 v48, v106, 0x3aee, v15
	v_fmac_f16_e32 v15, 0xbaee, v106
	v_fmamk_f16 v106, v31, 0xbaee, v53
	v_fmac_f16_e32 v53, 0x3aee, v31
	v_fmamk_f16 v31, v127, 0x3aee, v33
	v_fma_f16 v122, 0xbaee, v25, v135
	v_sub_f16_e64 v132, v42, v43
	v_fma_f16 v14, -0.5, v130, v12
	v_fmac_f16_e32 v33, 0xbaee, v127
	v_fmac_f16_e64 v135, 0x3aee, v25
	v_sub_f16_e64 v136, v20, v16
	v_add_f16_e32 v50, v124, v21
	v_fma_f16 v21, -0.5, v134, v40
	v_add_f16_e32 v24, v22, v46
	v_sub_f16_e32 v46, v22, v46
	v_add_f16_e32 v124, v49, v51
	v_sub_f16_e32 v49, v49, v51
	v_fma_f16 v51, 0x3aee, v138, v54
	v_fmac_f16_e64 v54, 0xbaee, v138
	v_fma_f16 v126, 0xbaee, v140, v55
	v_fmac_f16_e64 v55, 0x3aee, v140
	v_mul_f16_e32 v127, 0x3aee, v52
	v_mul_f16_e64 v129, 0xbaee, v59
	v_mul_f16_e64 v128, -0.5, v32
	v_mul_f16_e64 v130, -0.5, v125
	v_mul_f16_e64 v131, 0x3aee, v122
	v_mul_f16_e64 v133, 0xbaee, v31
	v_fma_f16 v22, 0x3aee, v132, v14
	v_fmac_f16_e64 v14, 0xbaee, v132
	v_mul_f16_e64 v132, -0.5, v33
	v_mul_f16_e64 v134, -0.5, v135
	v_add_f16_e32 v123, v23, v50
	v_sub_f16_e32 v50, v23, v50
	v_fma_f16 v23, 0xbaee, v136, v21
	v_fmac_f16_e64 v21, 0x3aee, v136
	v_pack_b32_f16 v136, v24, v30
	v_mul_f16_e32 v24, 0x3aee, v126
	v_pack_b32_f16 v46, v46, v26
	v_mul_f16_e32 v25, -0.5, v54
	v_mul_f16_e32 v26, 0xbaee, v51
	v_mul_f16_e32 v30, -0.5, v55
	v_fmac_f16_e32 v127, 0.5, v59
	v_fmac_f16_e64 v129, 0.5, v52
	v_fmac_f16_e64 v128, 0x3aee, v125
	v_fmac_f16_e64 v130, 0xbaee, v32
	v_fmac_f16_e64 v131, 0.5, v31
	v_fmac_f16_e64 v133, 0.5, v122
	v_fmac_f16_e64 v132, 0x3aee, v135
	v_fmac_f16_e64 v134, 0xbaee, v33
	v_fmac_f16_e32 v24, 0.5, v51
	v_fmac_f16_e32 v25, 0x3aee, v55
	v_fmac_f16_e32 v26, 0.5, v126
	v_fmac_f16_e32 v30, 0xbaee, v54
	v_add_f16_e32 v31, v58, v127
	v_add_f16_e64 v33, v39, v129
	v_pack_b32_f16 v49, v50, v49
	v_add_f16_e64 v32, v38, v128
	v_add_f16_e64 v50, v47, v130
	v_sub_f16_e32 v51, v58, v127
	v_sub_f16_e64 v38, v38, v128
	v_sub_f16_e64 v39, v39, v129
	;; [unrolled: 1-line block ×3, first 2 shown]
	v_add_f16_e64 v52, v48, v131
	v_add_f16_e64 v55, v106, v133
	;; [unrolled: 1-line block ×4, first 2 shown]
	v_sub_f16_e64 v48, v48, v131
	v_sub_f16_e64 v15, v15, v132
	;; [unrolled: 1-line block ×4, first 2 shown]
	v_sub_f16_e32 v58, v22, v24
	v_sub_f16_e32 v59, v14, v25
	v_sub_f16_e64 v149, v23, v26
	v_sub_f16_e64 v150, v21, v30
	v_pack_b32_f16 v31, v31, v33
	v_pack_b32_f16 v32, v32, v50
	;; [unrolled: 1-line block ×9, first 2 shown]
	ds_store_2addr_b32 v96, v136, v31 offset1:3
	ds_store_2addr_b32 v96, v32, v46 offset0:6 offset1:9
	ds_store_2addr_b32 v96, v33, v38 offset0:12 offset1:15
	ds_store_2addr_b32 v95, v123, v39 offset1:3
	ds_store_2addr_b32 v95, v47, v49 offset0:6 offset1:9
	ds_store_2addr_b32 v95, v48, v15 offset0:12 offset1:15
	s_and_saveexec_b32 s1, s0
	s_cbranch_execz .LBB0_11
; %bb.10:
	v_add_f16_e32 v15, v40, v42
	v_add_f16_e32 v31, v41, v44
	;; [unrolled: 1-line block ×11, first 2 shown]
	v_sub_f16_e32 v18, v15, v19
	v_add_f16_e32 v15, v15, v19
	v_mul_u32_u24_e32 v19, 18, v94
	v_add_f16_e32 v21, v12, v13
	v_add_f16_e32 v14, v14, v25
	v_sub_f16_e32 v12, v12, v13
	v_pack_b32_f16 v16, v22, v16
	v_add_lshl_u32 v13, v19, v93, 2
	v_pack_b32_f16 v15, v21, v15
	v_pack_b32_f16 v14, v14, v20
	;; [unrolled: 1-line block ×3, first 2 shown]
	v_perm_b32 v18, v149, v58, 0x5040100
	v_perm_b32 v19, v150, v59, 0x5040100
	ds_store_2addr_b32 v13, v15, v16 offset1:3
	ds_store_2addr_b32 v13, v14, v12 offset0:6 offset1:9
	ds_store_2addr_b32 v13, v18, v19 offset0:12 offset1:15
.LBB0_11:
	s_wait_alu 0xfffe
	s_or_b32 exec_lo, exec_lo, s1
	v_mul_lo_u16 v12, v17, 57
	global_wb scope:SCOPE_SE
	s_wait_dscnt 0x0
	s_barrier_signal -1
	s_barrier_wait -1
	global_inv scope:SCOPE_SE
	v_lshrrev_b16 v48, 10, v12
	v_add_nc_u32_e32 v153, 0x400, v60
	v_add_nc_u32_e32 v155, 0x800, v60
	;; [unrolled: 1-line block ×4, first 2 shown]
	v_mul_lo_u16 v12, v48, 18
	v_and_b32_e32 v52, 0xffff, v48
	s_delay_alu instid0(VALU_DEP_2) | instskip(NEXT) | instid1(VALU_DEP_2)
	v_sub_nc_u16 v12, v85, v12
	v_mul_u32_u24_e32 v52, 0x120, v52
	s_delay_alu instid0(VALU_DEP_2) | instskip(NEXT) | instid1(VALU_DEP_1)
	v_and_b32_e32 v50, 0xff, v12
	v_mad_co_u64_u32 v[24:25], null, v50, 60, s[2:3]
	s_delay_alu instid0(VALU_DEP_3)
	v_or_b32_e32 v50, v52, v50
	s_clause 0x3
	global_load_b128 v[20:23], v[24:25], off offset:60
	global_load_b128 v[16:19], v[24:25], off offset:76
	;; [unrolled: 1-line block ×3, first 2 shown]
	global_load_b96 v[24:26], v[24:25], off offset:108
	ds_load_2addr_b32 v[30:31], v60 offset1:54
	ds_load_2addr_b32 v[32:33], v60 offset0:108 offset1:162
	ds_load_2addr_b32 v[38:39], v51 offset0:88 offset1:142
	;; [unrolled: 1-line block ×7, first 2 shown]
	v_lshlrev_b32_e32 v106, 2, v50
	global_wb scope:SCOPE_SE
	s_wait_loadcnt_dscnt 0x0
	s_barrier_signal -1
	s_barrier_wait -1
	global_inv scope:SCOPE_SE
	v_add_nc_u32_e32 v50, 0x200, v106
	v_lshrrev_b32_e32 v55, 16, v32
	v_lshrrev_b32_e32 v54, 16, v31
	v_lshrrev_b32_e32 v122, 16, v33
	v_lshrrev_b32_e32 v123, 16, v38
	v_lshrrev_b32_e32 v124, 16, v39
	v_lshrrev_b32_e32 v126, 16, v40
	v_lshrrev_b32_e32 v128, 16, v41
	v_lshrrev_b32_e32 v130, 16, v42
	v_lshrrev_b32_e32 v132, 16, v43
	v_lshrrev_b32_e32 v134, 16, v44
	v_lshrrev_b32_e32 v136, 16, v45
	v_lshrrev_b32_e32 v52, 16, v46
	v_lshrrev_b32_e32 v138, 16, v47
	v_lshrrev_b32_e32 v140, 16, v48
	v_lshrrev_b32_e32 v142, 16, v49
	v_lshrrev_b32_e32 v53, 16, v30
	v_lshrrev_b32_e32 v148, 16, v20
	v_lshrrev_b32_e32 v147, 16, v21
	v_lshrrev_b32_e32 v146, 16, v22
	v_lshrrev_b32_e32 v145, 16, v23
	v_lshrrev_b32_e32 v144, 16, v16
	v_lshrrev_b32_e32 v143, 16, v17
	v_lshrrev_b32_e32 v141, 16, v18
	v_lshrrev_b32_e32 v139, 16, v19
	v_lshrrev_b32_e32 v137, 16, v12
	v_lshrrev_b32_e32 v135, 16, v13
	v_lshrrev_b32_e32 v133, 16, v14
	v_lshrrev_b32_e32 v131, 16, v15
	v_lshrrev_b32_e32 v129, 16, v24
	v_lshrrev_b32_e32 v127, 16, v25
	v_lshrrev_b32_e32 v125, 16, v26
	v_mul_f16_e64 v151, v54, v148
	v_mul_f16_e64 v152, v31, v148
	;; [unrolled: 1-line block ×30, first 2 shown]
	v_fma_f16 v31, v31, v20, -v151
	v_fmac_f16_e64 v152, v54, v20
	v_fma_f16 v32, v32, v21, -v156
	v_fmac_f16_e64 v157, v55, v21
	v_fma_f16 v33, v33, v22, -v158
	v_fmac_f16_e64 v159, v122, v22
	v_fma_f16 v38, v38, v23, -v160
	v_fmac_f16_e64 v161, v123, v23
	v_fma_f16 v39, v39, v16, -v162
	v_fmac_f16_e64 v163, v124, v16
	v_fma_f16 v40, v40, v17, -v164
	v_fmac_f16_e64 v165, v126, v17
	v_fma_f16 v41, v41, v18, -v166
	v_fmac_f16_e64 v167, v128, v18
	v_fma_f16 v42, v42, v19, -v168
	v_fmac_f16_e64 v169, v130, v19
	v_fma_f16 v43, v43, v12, -v170
	v_fmac_f16_e64 v171, v132, v12
	v_fma_f16 v44, v44, v13, -v172
	v_fmac_f16_e64 v173, v134, v13
	v_fma_f16 v45, v45, v14, -v174
	v_fmac_f16_e64 v175, v136, v14
	v_fma_f16 v46, v46, v15, -v176
	v_fmac_f16_e64 v177, v52, v15
	v_fma_f16 v47, v47, v24, -v178
	v_fmac_f16_e64 v179, v138, v24
	v_fma_f16 v48, v48, v25, -v180
	v_fmac_f16_e64 v181, v140, v25
	v_fma_f16 v49, v49, v26, -v182
	v_fmac_f16_e64 v183, v142, v26
	v_sub_f16_e32 v42, v30, v42
	v_sub_f16_e64 v52, v53, v169
	v_sub_f16_e32 v46, v38, v46
	v_sub_f16_e64 v54, v161, v177
	;; [unrolled: 2-line block ×8, first 2 shown]
	v_fma_f16 v53, v53, 2.0, -v52
	v_fma_f16 v38, v38, 2.0, -v46
	v_fma_f16 v130, v161, 2.0, -v54
	v_fma_f16 v132, v157, 2.0, -v55
	v_fma_f16 v40, v40, 2.0, -v48
	v_fma_f16 v134, v165, 2.0, -v122
	v_fma_f16 v136, v152, 2.0, -v123
	v_fma_f16 v39, v39, 2.0, -v47
	v_fma_f16 v138, v163, 2.0, -v124
	v_fma_f16 v140, v159, 2.0, -v126
	v_fma_f16 v41, v41, 2.0, -v49
	v_fma_f16 v142, v167, 2.0, -v128
	v_sub_f16_e32 v54, v42, v54
	v_add_f16_e32 v46, v52, v46
	v_sub_f16_e32 v122, v44, v122
	v_add_f16_e32 v48, v55, v48
	;; [unrolled: 2-line block ×3, first 2 shown]
	v_sub_f16_e64 v128, v45, v128
	v_add_f16_e32 v49, v126, v49
	v_fma_f16 v30, v30, 2.0, -v42
	v_fma_f16 v32, v32, 2.0, -v44
	;; [unrolled: 1-line block ×4, first 2 shown]
	v_sub_f16_e64 v130, v53, v130
	v_fma_f16 v42, v42, 2.0, -v54
	v_fma_f16 v52, v52, 2.0, -v46
	v_sub_f16_e64 v134, v132, v134
	v_fma_f16 v44, v44, 2.0, -v122
	v_fma_f16 v55, v55, 2.0, -v48
	;; [unrolled: 3-line block ×4, first 2 shown]
	v_fma_f16 v156, 0x39a8, v122, v54
	v_fma_f16 v157, 0x39a8, v48, v46
	v_sub_f16_e32 v38, v30, v38
	v_sub_f16_e32 v40, v32, v40
	;; [unrolled: 1-line block ×4, first 2 shown]
	v_fma_f16 v158, 0x39a8, v128, v124
	v_fma_f16 v159, 0x39a8, v49, v47
	v_fma_f16 v53, v53, 2.0, -v130
	v_fma_f16 v132, v132, 2.0, -v134
	;; [unrolled: 1-line block ×4, first 2 shown]
	v_fma_f16 v160, 0xb9a8, v44, v42
	v_fma_f16 v161, 0xb9a8, v55, v52
	v_fmac_f16_e64 v156, 0xb9a8, v48
	v_fmac_f16_e64 v157, 0x39a8, v122
	v_fmamk_f16 v48, v45, 0xb9a8, v43
	v_fmamk_f16 v122, v126, 0xb9a8, v123
	v_fma_f16 v32, v32, 2.0, -v40
	v_fma_f16 v33, v33, 2.0, -v41
	v_sub_f16_e64 v134, v38, v134
	v_add_f16_e64 v40, v130, v40
	v_sub_f16_e64 v142, v39, v142
	v_add_f16_e64 v41, v138, v41
	v_fmac_f16_e64 v158, 0xb9a8, v49
	v_fmac_f16_e64 v159, 0x39a8, v128
	v_fma_f16 v30, v30, 2.0, -v38
	v_fma_f16 v31, v31, 2.0, -v39
	v_sub_f16_e64 v49, v53, v132
	v_fmac_f16_e64 v160, 0xb9a8, v55
	v_fmac_f16_e64 v161, 0x39a8, v44
	v_sub_f16_e64 v55, v136, v140
	v_fmac_f16_e32 v48, 0xb9a8, v126
	v_fmac_f16_e32 v122, 0x39a8, v45
	v_fma_f16 v38, v38, 2.0, -v134
	v_fma_f16 v44, v130, 2.0, -v40
	;; [unrolled: 1-line block ×8, first 2 shown]
	v_sub_f16_e32 v32, v30, v32
	v_sub_f16_e32 v33, v31, v33
	v_fma_f16 v126, 0x39a8, v142, v134
	v_fma_f16 v128, 0x39a8, v41, v40
	;; [unrolled: 1-line block ×4, first 2 shown]
	v_fma_f16 v53, v53, 2.0, -v49
	v_fma_f16 v42, v42, 2.0, -v160
	;; [unrolled: 1-line block ×6, first 2 shown]
	v_fma_f16 v132, 0xb9a8, v39, v38
	v_fma_f16 v136, 0xb9a8, v45, v44
	;; [unrolled: 1-line block ×6, first 2 shown]
	v_fma_f16 v31, v31, 2.0, -v33
	v_sub_f16_e32 v55, v32, v55
	v_add_f16_e32 v33, v49, v33
	v_fmac_f16_e32 v126, 0xb9a8, v41
	v_fmac_f16_e64 v128, 0x39a8, v142
	v_fmac_f16_e64 v151, 0xb61f, v159
	;; [unrolled: 1-line block ×3, first 2 shown]
	v_fma_f16 v30, v30, 2.0, -v32
	v_sub_f16_e64 v41, v53, v130
	v_fma_f16 v130, 0xbb64, v43, v42
	v_fma_f16 v142, 0xbb64, v123, v52
	v_fmac_f16_e64 v132, 0xb9a8, v45
	v_fmac_f16_e64 v136, 0x39a8, v39
	;; [unrolled: 1-line block ×6, first 2 shown]
	v_fma_f16 v32, v32, 2.0, -v55
	v_fma_f16 v39, v49, 2.0, -v33
	;; [unrolled: 1-line block ×6, first 2 shown]
	v_sub_f16_e32 v31, v30, v31
	v_fmac_f16_e64 v130, 0xb61f, v123
	v_fmac_f16_e64 v142, 0x361f, v43
	v_fma_f16 v38, v38, 2.0, -v132
	v_fma_f16 v43, v44, 2.0, -v136
	;; [unrolled: 1-line block ×6, first 2 shown]
	v_pack_b32_f16 v32, v32, v39
	v_pack_b32_f16 v39, v45, v40
	;; [unrolled: 1-line block ×3, first 2 shown]
	v_fma_f16 v30, v30, 2.0, -v31
	v_fma_f16 v53, v53, 2.0, -v41
	;; [unrolled: 1-line block ×4, first 2 shown]
	v_pack_b32_f16 v33, v55, v33
	v_pack_b32_f16 v49, v126, v128
	;; [unrolled: 1-line block ×10, first 2 shown]
	ds_store_2addr_b32 v106, v39, v40 offset0:108 offset1:126
	v_pack_b32_f16 v39, v130, v142
	v_pack_b32_f16 v30, v30, v53
	;; [unrolled: 1-line block ×3, first 2 shown]
	ds_store_2addr_b32 v50, v49, v55 offset0:124 offset1:142
	ds_store_2addr_b32 v106, v41, v45 offset0:180 offset1:198
	;; [unrolled: 1-line block ×6, first 2 shown]
	ds_store_2addr_b32 v106, v30, v40 offset1:18
	global_wb scope:SCOPE_SE
	s_wait_dscnt 0x0
	s_barrier_signal -1
	s_barrier_wait -1
	global_inv scope:SCOPE_SE
	ds_load_2addr_b32 v[44:45], v60 offset1:54
	ds_load_2addr_b32 v[42:43], v51 offset0:88 offset1:160
	ds_load_2addr_b32 v[54:55], v155 offset0:64 offset1:118
	;; [unrolled: 1-line block ×6, first 2 shown]
	ds_load_b32 v122, v60 offset:3168
	s_and_saveexec_b32 s1, vcc_lo
	s_cbranch_execz .LBB0_13
; %bb.12:
	ds_load_b32 v151, v60 offset:1080
	ds_load_b32 v58, v60 offset:2232
	ds_load_b32 v59, v60 offset:3384
	s_wait_dscnt 0x2
	v_lshrrev_b32_e32 v152, 16, v151
	s_wait_dscnt 0x1
	v_lshrrev_b32_e32 v149, 16, v58
	;; [unrolled: 2-line block ×3, first 2 shown]
.LBB0_13:
	s_wait_alu 0xfffe
	s_or_b32 exec_lo, exec_lo, s1
	v_lshlrev_b32_e32 v30, 3, v85
	v_lshlrev_b32_e32 v31, 3, v37
	;; [unrolled: 1-line block ×3, first 2 shown]
	s_wait_dscnt 0x5
	v_lshrrev_b32_e32 v123, 16, v54
	s_wait_dscnt 0x4
	v_lshrrev_b32_e32 v157, 16, v52
	s_clause 0x1
	global_load_b64 v[36:37], v30, s[2:3] offset:1140
	global_load_b64 v[38:39], v31, s[2:3] offset:1140
	v_lshlrev_b32_e32 v30, 3, v35
	v_lshlrev_b32_e32 v31, 3, v34
	s_clause 0x2
	global_load_b64 v[40:41], v32, s[2:3] offset:1140
	global_load_b64 v[34:35], v30, s[2:3] offset:1140
	;; [unrolled: 1-line block ×3, first 2 shown]
	v_add_co_u32 v30, s1, 0xffffffee, v85
	s_wait_alu 0xf1ff
	v_add_co_ci_u32_e64 v31, null, 0, -1, s1
	v_lshrrev_b32_e32 v158, 16, v55
	s_delay_alu instid0(VALU_DEP_3) | instskip(SKIP_1) | instid1(VALU_DEP_4)
	v_cndmask_b32_e32 v30, v30, v56, vcc_lo
	v_lshrrev_b32_e32 v160, 16, v53
	v_cndmask_b32_e32 v31, v31, v57, vcc_lo
	v_lshrrev_b32_e32 v57, 16, v43
	s_wait_dscnt 0x1
	v_lshrrev_b32_e32 v166, 16, v49
	v_lshrrev_b32_e32 v161, 16, v50
	s_wait_dscnt 0x0
	v_lshrrev_b32_e32 v167, 16, v122
	v_lshlrev_b64_e32 v[30:31], 3, v[30:31]
	v_lshrrev_b32_e32 v56, 16, v44
	v_lshrrev_b32_e32 v156, 16, v45
	;; [unrolled: 1-line block ×5, first 2 shown]
	v_add_co_u32 v30, s1, s2, v30
	s_wait_alu 0xf1ff
	v_add_co_ci_u32_e64 v31, s1, s3, v31, s1
	v_lshrrev_b32_e32 v159, 16, v46
	v_lshrrev_b32_e32 v162, 16, v47
	global_load_b64 v[30:31], v[30:31], off offset:1140
	s_wait_loadcnt 0x5
	v_lshrrev_b32_e32 v142, 16, v36
	v_lshrrev_b32_e32 v140, 16, v37
	s_wait_loadcnt 0x4
	v_lshrrev_b32_e32 v138, 16, v38
	v_lshrrev_b32_e32 v136, 16, v39
	;; [unrolled: 3-line block ×4, first 2 shown]
	v_lshrrev_b32_e32 v130, 16, v34
	v_lshrrev_b32_e32 v128, 16, v35
	v_mul_f16_e64 v168, v57, v142
	v_mul_f16_e64 v169, v43, v142
	;; [unrolled: 1-line block ×18, first 2 shown]
	v_fma_f16 v43, v43, v36, -v168
	v_fmac_f16_e64 v169, v57, v36
	v_fma_f16 v54, v54, v37, -v170
	v_fmac_f16_e64 v171, v123, v37
	;; [unrolled: 2-line block ×4, first 2 shown]
	v_fma_f16 v53, v53, v40, -v176
	v_fma_f16 v49, v49, v32, -v184
	v_fmac_f16_e64 v185, v166, v32
	v_fmac_f16_e64 v187, v167, v33
	v_mul_f16_e64 v180, v163, v130
	v_mul_f16_e64 v182, v164, v128
	v_fmac_f16_e64 v177, v160, v40
	v_fma_f16 v50, v50, v41, -v178
	v_fmac_f16_e64 v179, v161, v41
	v_fmac_f16_e64 v181, v163, v34
	;; [unrolled: 1-line block ×3, first 2 shown]
	v_fma_f16 v57, v122, v33, -v186
	v_add_f16_e64 v157, v44, v43
	v_add_f16_e64 v158, v43, v54
	v_sub_f16_e64 v160, v169, v171
	v_add_f16_e64 v161, v56, v169
	v_add_f16_e64 v163, v169, v171
	;; [unrolled: 1-line block ×8, first 2 shown]
	v_sub_f16_e64 v188, v185, v187
	v_add_f16_e64 v189, v165, v185
	v_add_f16_e64 v185, v185, v187
	s_wait_loadcnt 0x0
	v_lshrrev_b32_e32 v123, 16, v30
	v_lshrrev_b32_e32 v122, 16, v31
	v_sub_f16_e32 v43, v43, v54
	v_sub_f16_e32 v52, v52, v55
	v_add_f16_e64 v172, v53, v50
	v_add_f16_e64 v174, v159, v177
	v_add_f16_e64 v176, v177, v179
	v_sub_f16_e32 v53, v53, v50
	v_add_f16_e64 v186, v49, v57
	v_sub_f16_e32 v49, v49, v57
	v_add_f16_e64 v54, v157, v54
	v_fma_f16 v44, -0.5, v158, v44
	v_add_f16_e64 v157, v161, v171
	v_add_f16_e64 v55, v164, v55
	v_fmac_f16_e64 v45, -0.5, v166
	v_add_f16_e64 v158, v168, v175
	v_fmac_f16_e64 v156, -0.5, v169
	v_add_f16_e64 v50, v170, v50
	v_add_f16_e64 v57, v184, v57
	;; [unrolled: 1-line block ×3, first 2 shown]
	v_fmac_f16_e64 v165, -0.5, v185
	v_mul_f16_e64 v166, v149, v123
	v_mul_f16_e64 v168, v58, v123
	;; [unrolled: 1-line block ×4, first 2 shown]
	v_fma_f16 v48, v48, v34, -v180
	v_fma_f16 v51, v51, v35, -v182
	v_sub_f16_e64 v167, v173, v175
	v_sub_f16_e64 v173, v177, v179
	v_fmac_f16_e64 v56, -0.5, v163
	v_fma_f16 v46, -0.5, v172, v46
	v_add_f16_e64 v161, v174, v179
	v_fmac_f16_e64 v159, -0.5, v176
	v_fma_f16 v174, 0xbaee, v49, v165
	v_fmac_f16_e64 v165, 0x3aee, v49
	v_pack_b32_f16 v49, v54, v157
	v_pack_b32_f16 v54, v55, v158
	;; [unrolled: 1-line block ×3, first 2 shown]
	v_fma_f16 v57, v58, v30, -v166
	v_fmac_f16_e64 v168, v149, v30
	v_fma_f16 v58, v59, v31, -v169
	v_fmac_f16_e64 v170, v150, v31
	v_add_f16_e64 v178, v48, v51
	v_sub_f16_e64 v180, v181, v183
	v_add_f16_e64 v182, v162, v181
	v_add_f16_e64 v181, v181, v183
	v_fma_f16 v171, 0x3aee, v160, v44
	v_fmac_f16_e64 v44, 0xbaee, v160
	v_fma_f16 v160, 0xbaee, v43, v56
	v_fmac_f16_e32 v56, 0x3aee, v43
	v_fma_f16 v43, 0x3aee, v167, v45
	v_fmac_f16_e64 v45, 0xbaee, v167
	v_fma_f16 v167, 0xbaee, v52, v156
	v_fmac_f16_e64 v156, 0x3aee, v52
	v_fma_f16 v52, 0x3aee, v173, v46
	v_fma_f16 v172, 0xbaee, v53, v159
	v_add_f16_e64 v149, v57, v58
	v_add_f16_e64 v157, v168, v170
	;; [unrolled: 1-line block ×3, first 2 shown]
	v_sub_f16_e32 v48, v48, v51
	v_fmac_f16_e64 v47, -0.5, v178
	v_fmac_f16_e64 v162, -0.5, v181
	;; [unrolled: 1-line block ×3, first 2 shown]
	v_fmac_f16_e64 v46, 0xbaee, v173
	v_fmac_f16_e64 v159, 0x3aee, v53
	v_pack_b32_f16 v59, v171, v160
	v_pack_b32_f16 v44, v44, v56
	;; [unrolled: 1-line block ×5, first 2 shown]
	v_add_f16_e64 v56, v151, v57
	v_sub_f16_e64 v156, v168, v170
	v_add_f16_e64 v150, v152, v168
	v_sub_f16_e32 v57, v57, v58
	v_fmac_f16_e64 v151, -0.5, v149
	v_fmac_f16_e64 v152, -0.5, v157
	v_add_f16_e64 v51, v177, v51
	v_add_f16_e64 v163, v182, v183
	v_fma_f16 v53, 0x3aee, v180, v47
	v_fma_f16 v173, 0xbaee, v48, v162
	v_fmac_f16_e64 v162, 0x3aee, v48
	v_fma_f16 v48, 0x3aee, v188, v42
	v_fmac_f16_e64 v47, 0xbaee, v180
	v_fmac_f16_e64 v42, 0xbaee, v188
	v_pack_b32_f16 v46, v46, v159
	ds_store_b32 v60, v59 offset:1152
	ds_store_b32 v60, v44 offset:2304
	ds_store_2addr_b32 v60, v49, v54 offset1:54
	ds_store_2addr_b32 v153, v43, v52 offset0:86 offset1:140
	v_add_f16_e32 v43, v56, v58
	v_add_f16_e64 v149, v150, v170
	v_fma_f16 v150, 0x3aee, v156, v151
	v_fmac_f16_e64 v151, 0xbaee, v156
	v_fma_f16 v156, 0xbaee, v57, v152
	v_fmac_f16_e64 v152, 0x3aee, v57
	v_pack_b32_f16 v50, v50, v161
	v_pack_b32_f16 v51, v51, v163
	v_pack_b32_f16 v53, v53, v173
	v_pack_b32_f16 v48, v48, v174
	v_pack_b32_f16 v47, v47, v162
	v_pack_b32_f16 v42, v42, v165
	ds_store_2addr_b32 v155, v45, v46 offset0:118 offset1:172
	ds_store_2addr_b32 v60, v50, v51 offset0:108 offset1:162
	ds_store_b32 v60, v55 offset:864
	ds_store_2addr_b32 v153, v53, v48 offset0:194 offset1:248
	ds_store_2addr_b32 v154, v47, v42 offset0:98 offset1:152
	s_and_saveexec_b32 s1, vcc_lo
	s_cbranch_execz .LBB0_15
; %bb.14:
	v_perm_b32 v42, v149, v43, 0x5040100
	v_perm_b32 v44, v156, v150, 0x5040100
	;; [unrolled: 1-line block ×3, first 2 shown]
	ds_store_b32 v60, v42 offset:1080
	ds_store_b32 v60, v44 offset:2232
	;; [unrolled: 1-line block ×3, first 2 shown]
.LBB0_15:
	s_wait_alu 0xfffe
	s_or_b32 exec_lo, exec_lo, s1
	global_wb scope:SCOPE_SE
	s_wait_dscnt 0x0
	s_barrier_signal -1
	s_barrier_wait -1
	global_inv scope:SCOPE_SE
	global_load_b32 v49, v[27:28], off offset:3456
	v_lshlrev_b32_e32 v42, 2, v85
	s_add_nc_u64 s[2:3], s[16:17], 0xd80
	s_clause 0xd
	global_load_b32 v59, v42, s[2:3] offset:1152
	global_load_b32 v153, v42, s[2:3] offset:2304
	global_load_b32 v57, v42, s[2:3] offset:216
	global_load_b32 v154, v42, s[2:3] offset:1368
	global_load_b32 v155, v42, s[2:3] offset:2520
	global_load_b32 v157, v42, s[2:3] offset:432
	global_load_b32 v158, v42, s[2:3] offset:1584
	global_load_b32 v159, v42, s[2:3] offset:2736
	global_load_b32 v160, v42, s[2:3] offset:648
	global_load_b32 v161, v42, s[2:3] offset:1800
	global_load_b32 v58, v42, s[2:3] offset:3168
	global_load_b32 v162, v42, s[2:3] offset:2952
	global_load_b32 v163, v42, s[2:3] offset:864
	global_load_b32 v164, v42, s[2:3] offset:2016
	ds_load_2addr_b32 v[47:48], v60 offset1:54
	ds_load_b32 v165, v60 offset:3168
	v_add_nc_u32_e32 v46, 0x200, v60
	v_add_nc_u32_e32 v45, 0x400, v60
	;; [unrolled: 1-line block ×5, first 2 shown]
	s_wait_dscnt 0x1
	v_lshrrev_b32_e32 v50, 16, v47
	v_lshrrev_b32_e32 v168, 16, v48
	s_wait_dscnt 0x0
	v_lshrrev_b32_e32 v169, 16, v165
	s_wait_loadcnt 0xd
	v_lshrrev_b32_e32 v170, 16, v59
	s_wait_loadcnt 0xc
	;; [unrolled: 2-line block ×7, first 2 shown]
	v_lshrrev_b32_e32 v175, 16, v158
	v_lshrrev_b32_e32 v51, 16, v49
	v_mul_f16_e64 v180, v168, v55
	v_mul_f16_e64 v181, v48, v55
	s_wait_loadcnt 0x6
	v_lshrrev_b32_e32 v176, 16, v159
	s_wait_loadcnt 0x4
	v_lshrrev_b32_e32 v178, 16, v161
	v_mul_f16_e32 v52, v50, v51
	v_mul_f16_e32 v51, v47, v51
	v_fma_f16 v180, v48, v57, -v180
	v_fmac_f16_e64 v181, v168, v57
	v_lshrrev_b32_e32 v177, 16, v160
	v_fma_f16 v47, v47, v49, -v52
	v_fmac_f16_e32 v51, v50, v49
	s_wait_loadcnt 0x1
	v_lshrrev_b32_e32 v168, 16, v163
	v_pack_b32_f16 v180, v180, v181
	v_lshrrev_b32_e32 v179, 16, v162
	v_pack_b32_f16 v47, v47, v51
	ds_store_b32 v60, v47
	v_lshrrev_b32_e32 v47, 16, v58
	ds_load_2addr_b32 v[49:50], v46 offset0:88 offset1:160
	ds_load_2addr_b32 v[53:54], v45 offset0:86 offset1:140
	;; [unrolled: 1-line block ×4, first 2 shown]
	v_mul_f16_e64 v182, v169, v47
	v_mul_f16_e64 v183, v165, v47
	ds_load_2addr_b32 v[47:48], v44 offset0:172 offset1:226
	v_fma_f16 v165, v165, v58, -v182
	v_fmac_f16_e64 v183, v169, v58
	ds_load_2addr_b32 v[57:58], v45 offset0:194 offset1:248
	s_wait_loadcnt 0x0
	v_lshrrev_b32_e32 v169, 16, v164
	v_pack_b32_f16 v165, v165, v183
	s_wait_dscnt 0x5
	v_lshrrev_b32_e32 v181, 16, v50
	s_wait_dscnt 0x4
	v_lshrrev_b32_e32 v185, 16, v53
	;; [unrolled: 2-line block ×4, first 2 shown]
	v_lshrrev_b32_e32 v191, 16, v54
	v_lshrrev_b32_e32 v195, 16, v56
	s_wait_dscnt 0x1
	v_lshrrev_b32_e32 v193, 16, v47
	v_lshrrev_b32_e32 v201, 16, v49
	v_mul_f16_e64 v182, v50, v170
	v_lshrrev_b32_e32 v183, 16, v51
	v_mul_f16_e64 v186, v53, v172
	s_wait_dscnt 0x0
	v_lshrrev_b32_e32 v197, 16, v57
	v_lshrrev_b32_e32 v199, 16, v48
	;; [unrolled: 1-line block ×3, first 2 shown]
	v_mul_f16_e64 v170, v181, v170
	v_mul_f16_e64 v172, v185, v172
	;; [unrolled: 1-line block ×19, first 2 shown]
	v_fmac_f16_e64 v182, v181, v59
	v_mul_f16_e64 v171, v183, v171
	v_fmac_f16_e64 v186, v185, v154
	v_mul_f16_e64 v179, v199, v179
	v_mul_f16_e64 v169, v203, v169
	v_fma_f16 v50, v50, v59, -v170
	v_fma_f16 v53, v53, v154, -v172
	v_fmac_f16_e64 v190, v189, v157
	v_fma_f16 v55, v55, v157, -v174
	v_fmac_f16_e64 v188, v187, v155
	v_fmac_f16_e64 v194, v193, v159
	v_fma_f16 v52, v52, v155, -v173
	v_fma_f16 v47, v47, v159, -v176
	v_fmac_f16_e64 v192, v191, v158
	v_fmac_f16_e64 v198, v197, v161
	v_fma_f16 v54, v54, v158, -v175
	;; [unrolled: 4-line block ×3, first 2 shown]
	v_fma_f16 v49, v49, v163, -v168
	v_fmac_f16_e64 v184, v183, v153
	v_fmac_f16_e64 v200, v199, v162
	;; [unrolled: 1-line block ×3, first 2 shown]
	v_fma_f16 v51, v51, v153, -v171
	v_fma_f16 v48, v48, v162, -v179
	;; [unrolled: 1-line block ×3, first 2 shown]
	v_pack_b32_f16 v50, v50, v182
	v_pack_b32_f16 v53, v53, v186
	;; [unrolled: 1-line block ×12, first 2 shown]
	ds_store_2addr_b32 v45, v50, v53 offset0:32 offset1:86
	ds_store_2addr_b32 v60, v180, v55 offset0:54 offset1:108
	;; [unrolled: 1-line block ×7, first 2 shown]
	s_and_saveexec_b32 s1, vcc_lo
	s_cbranch_execz .LBB0_17
; %bb.16:
	s_wait_alu 0xfffe
	v_add_co_u32 v47, s2, s2, v42
	s_wait_alu 0xf1ff
	v_add_co_ci_u32_e64 v48, null, s3, 0, s2
	s_clause 0x2
	global_load_b32 v42, v[47:48], off offset:1080
	global_load_b32 v49, v[47:48], off offset:2232
	;; [unrolled: 1-line block ×3, first 2 shown]
	ds_load_b32 v48, v60 offset:1080
	ds_load_b32 v50, v60 offset:2232
	;; [unrolled: 1-line block ×3, first 2 shown]
	s_wait_dscnt 0x2
	v_lshrrev_b32_e32 v52, 16, v48
	s_wait_dscnt 0x1
	v_lshrrev_b32_e32 v54, 16, v50
	;; [unrolled: 2-line block ×3, first 2 shown]
	s_wait_loadcnt 0x2
	v_lshrrev_b32_e32 v53, 16, v42
	s_wait_loadcnt 0x1
	v_lshrrev_b32_e32 v55, 16, v49
	;; [unrolled: 2-line block ×3, first 2 shown]
	v_mul_f16_e32 v58, v52, v53
	v_mul_f16_e32 v53, v48, v53
	;; [unrolled: 1-line block ×4, first 2 shown]
	v_mul_f16_e64 v153, v56, v57
	v_mul_f16_e32 v57, v51, v57
	v_fma_f16 v48, v48, v42, -v58
	v_fmac_f16_e32 v53, v52, v42
	v_fma_f16 v42, v50, v49, -v59
	v_fmac_f16_e32 v55, v54, v49
	;; [unrolled: 2-line block ×3, first 2 shown]
	v_pack_b32_f16 v47, v48, v53
	s_delay_alu instid0(VALU_DEP_4) | instskip(NEXT) | instid1(VALU_DEP_3)
	v_pack_b32_f16 v42, v42, v55
	v_pack_b32_f16 v48, v49, v57
	ds_store_b32 v60, v47 offset:1080
	ds_store_b32 v60, v42 offset:2232
	;; [unrolled: 1-line block ×3, first 2 shown]
.LBB0_17:
	s_wait_alu 0xfffe
	s_or_b32 exec_lo, exec_lo, s1
	global_wb scope:SCOPE_SE
	s_wait_dscnt 0x0
	s_barrier_signal -1
	s_barrier_wait -1
	global_inv scope:SCOPE_SE
	ds_load_2addr_b32 v[56:57], v60 offset1:54
	ds_load_2addr_b32 v[58:59], v46 offset0:88 offset1:160
	ds_load_2addr_b32 v[52:53], v44 offset0:64 offset1:118
	;; [unrolled: 1-line block ×6, first 2 shown]
	ds_load_b32 v42, v60 offset:3168
	s_and_saveexec_b32 s1, vcc_lo
	s_cbranch_execz .LBB0_19
; %bb.18:
	ds_load_b32 v43, v60 offset:1080
	ds_load_b32 v150, v60 offset:2232
	ds_load_b32 v151, v60 offset:3384
	s_wait_dscnt 0x2
	v_lshrrev_b32_e32 v149, 16, v43
	s_wait_dscnt 0x1
	v_lshrrev_b32_e32 v156, 16, v150
	;; [unrolled: 2-line block ×3, first 2 shown]
.LBB0_19:
	s_wait_alu 0xfffe
	s_or_b32 exec_lo, exec_lo, s1
	s_wait_dscnt 0x0
	v_pk_add_f16 v44, v49, v42
	v_pk_add_f16 v45, v49, v42 neg_lo:[0,1] neg_hi:[0,1]
	v_pk_add_f16 v49, v58, v49
	v_add_f16_e64 v160, v150, v43
	v_pk_add_f16 v153, v56, v59
	v_add_f16_e64 v158, v150, v151
	v_pk_fma_f16 v58, v44, 0.5, v58 op_sel_hi:[1,0,1] neg_lo:[1,0,0] neg_hi:[1,0,0]
	v_pk_add_f16 v44, v49, v42
	v_add_f16_e64 v49, v151, v160
	v_pk_add_f16 v160, v59, v52
	v_pk_add_f16 v59, v59, v52 neg_lo:[0,1] neg_hi:[0,1]
	v_fmac_f16_e64 v43, -0.5, v158
	v_sub_f16_e64 v158, v156, v152
	v_add_f16_e64 v161, v156, v152
	v_add_f16_e64 v156, v156, v149
	v_pk_fma_f16 v56, v160, 0.5, v56 op_sel_hi:[1,0,1] neg_lo:[1,0,0] neg_hi:[1,0,0]
	v_pk_mul_f16 v59, 0x3aee, v59 op_sel_hi:[0,1]
	v_pk_add_f16 v52, v153, v52
	v_fmac_f16_e64 v149, -0.5, v161
	v_sub_f16_e64 v161, v150, v151
	v_add_f16_e64 v151, v152, v156
	v_pk_add_f16 v152, v56, v59 op_sel:[0,1] op_sel_hi:[1,0] neg_lo:[0,1] neg_hi:[0,1]
	v_pk_add_f16 v56, v56, v59 op_sel:[0,1] op_sel_hi:[1,0]
	v_pk_add_f16 v154, v57, v54
	v_pk_add_f16 v59, v54, v53
	v_pk_add_f16 v54, v54, v53 neg_lo:[0,1] neg_hi:[0,1]
	v_pk_add_f16 v155, v50, v55
	v_bfi_b32 v153, 0xffff, v152, v56
	v_bfi_b32 v56, 0xffff, v56, v152
	global_wb scope:SCOPE_SE
	s_barrier_signal -1
	s_barrier_wait -1
	global_inv scope:SCOPE_SE
	ds_store_2addr_b32 v99, v52, v153 offset1:1
	ds_store_b32 v99, v56 offset:8
	v_pk_add_f16 v52, v55, v46
	v_pk_add_f16 v55, v55, v46 neg_lo:[0,1] neg_hi:[0,1]
	v_pk_fma_f16 v57, v59, 0.5, v57 op_sel_hi:[1,0,1] neg_lo:[1,0,0] neg_hi:[1,0,0]
	v_pk_mul_f16 v54, 0x3aee, v54 op_sel_hi:[0,1]
	v_pk_add_f16 v157, v51, v48
	v_pk_fma_f16 v50, v52, 0.5, v50 op_sel_hi:[1,0,1] neg_lo:[1,0,0] neg_hi:[1,0,0]
	v_pk_mul_f16 v52, 0x3aee, v55 op_sel_hi:[0,1]
	v_pk_add_f16 v55, v48, v47
	v_pk_add_f16 v48, v48, v47 neg_lo:[0,1] neg_hi:[0,1]
	v_pk_add_f16 v56, v57, v54 op_sel:[0,1] op_sel_hi:[1,0] neg_lo:[0,1] neg_hi:[0,1]
	v_pk_add_f16 v54, v57, v54 op_sel:[0,1] op_sel_hi:[1,0]
	v_pk_mul_f16 v159, 0x3aee, v45 op_sel_hi:[0,1]
	v_pk_fma_f16 v51, v55, 0.5, v51 op_sel_hi:[1,0,1] neg_lo:[1,0,0] neg_hi:[1,0,0]
	v_pk_mul_f16 v48, 0x3aee, v48 op_sel_hi:[0,1]
	v_pk_add_f16 v53, v154, v53
	v_bfi_b32 v57, 0xffff, v56, v54
	v_bfi_b32 v54, 0xffff, v54, v56
	v_pk_add_f16 v56, v50, v52 op_sel:[0,1] op_sel_hi:[1,0] neg_lo:[0,1] neg_hi:[0,1]
	v_pk_add_f16 v50, v50, v52 op_sel:[0,1] op_sel_hi:[1,0]
	v_pk_add_f16 v52, v51, v48 op_sel:[0,1] op_sel_hi:[1,0] neg_lo:[0,1] neg_hi:[0,1]
	v_pk_add_f16 v51, v51, v48 op_sel:[0,1] op_sel_hi:[1,0]
	v_pk_add_f16 v45, v58, v159 op_sel:[0,1] op_sel_hi:[1,0] neg_lo:[0,1] neg_hi:[0,1]
	v_fma_f16 v42, 0xbaee, v158, v43
	v_fmac_f16_e64 v43, 0x3aee, v158
	v_fma_f16 v150, 0x3aee, v161, v149
	v_fmac_f16_e64 v149, 0xbaee, v161
	ds_store_2addr_b32 v97, v53, v57 offset1:1
	ds_store_b32 v97, v54 offset:8
	v_pk_add_f16 v46, v155, v46
	v_bfi_b32 v53, 0xffff, v56, v50
	v_pk_add_f16 v48, v58, v159 op_sel:[0,1] op_sel_hi:[1,0]
	v_bfi_b32 v50, 0xffff, v50, v56
	v_pk_add_f16 v47, v157, v47
	v_bfi_b32 v54, 0xffff, v52, v51
	v_bfi_b32 v51, 0xffff, v51, v52
	;; [unrolled: 1-line block ×4, first 2 shown]
	ds_store_2addr_b32 v98, v46, v53 offset1:1
	ds_store_b32 v98, v50 offset:8
	ds_store_2addr_b32 v100, v47, v54 offset1:1
	ds_store_b32 v100, v51 offset:8
	ds_store_b32 v102, v44
	ds_store_2addr_b32 v102, v55, v52 offset0:1 offset1:2
	s_and_saveexec_b32 s1, vcc_lo
	s_cbranch_execz .LBB0_21
; %bb.20:
	v_lshlrev_b32_e32 v46, 2, v101
	v_perm_b32 v47, v150, v42, 0x5040100
	v_perm_b32 v50, v151, v49, 0x5040100
	;; [unrolled: 1-line block ×3, first 2 shown]
	ds_store_2addr_b32 v46, v50, v47 offset1:1
	ds_store_b32 v46, v51 offset:8
.LBB0_21:
	s_wait_alu 0xfffe
	s_or_b32 exec_lo, exec_lo, s1
	v_add_nc_u32_e32 v50, 0x400, v60
	v_add_nc_u32_e32 v51, 0x800, v60
	;; [unrolled: 1-line block ×3, first 2 shown]
	global_wb scope:SCOPE_SE
	s_wait_dscnt 0x0
	s_barrier_signal -1
	s_barrier_wait -1
	global_inv scope:SCOPE_SE
	ds_load_2addr_b32 v[46:47], v60 offset1:54
	ds_load_2addr_b32 v[58:59], v60 offset0:144 offset1:198
	ds_load_2addr_b32 v[56:57], v50 offset0:32 offset1:86
	;; [unrolled: 1-line block ×5, first 2 shown]
	v_lshrrev_b32_e32 v97, 16, v45
	v_lshrrev_b32_e32 v98, 16, v48
	s_and_saveexec_b32 s1, s0
	s_cbranch_execz .LBB0_23
; %bb.22:
	v_add_nc_u32_e32 v48, 0x600, v60
	ds_load_2addr_b32 v[44:45], v60 offset0:108 offset1:252
	ds_load_2addr_b32 v[42:43], v99 offset0:44 offset1:188
	;; [unrolled: 1-line block ×3, first 2 shown]
	s_wait_dscnt 0x2
	v_lshrrev_b32_e32 v98, 16, v45
	s_wait_dscnt 0x1
	v_lshrrev_b32_e32 v150, 16, v42
	;; [unrolled: 2-line block ×3, first 2 shown]
	v_lshrrev_b32_e32 v151, 16, v49
	v_lshrrev_b32_e32 v149, 16, v43
.LBB0_23:
	s_wait_alu 0xfffe
	s_or_b32 exec_lo, exec_lo, s1
	s_wait_dscnt 0x4
	v_lshrrev_b32_e32 v100, 16, v58
	s_wait_dscnt 0x3
	v_lshrrev_b32_e32 v101, 16, v56
	;; [unrolled: 2-line block ×5, first 2 shown]
	v_mul_f16_e64 v158, v121, v100
	v_mul_f16_e32 v121, v121, v58
	v_mul_f16_e64 v161, v120, v101
	v_lshrrev_b32_e32 v155, 16, v59
	v_lshrrev_b32_e32 v156, 16, v57
	v_fmac_f16_e64 v158, v8, v58
	v_mul_f16_e32 v58, v120, v56
	v_fma_f16 v100, v8, v100, -v121
	v_mul_f16_e32 v120, v119, v102
	v_mul_f16_e32 v8, v119, v54
	v_fmac_f16_e64 v161, v9, v56
	v_fma_f16 v56, v9, v101, -v58
	v_mul_f16_e64 v58, v118, v152
	v_fmac_f16_e32 v120, v10, v54
	v_mul_f16_e32 v9, v118, v52
	v_fma_f16 v10, v10, v102, -v8
	v_mul_f16_e64 v54, v117, v153
	v_mul_f16_e32 v8, v117, v50
	v_lshrrev_b32_e32 v157, 16, v55
	v_lshrrev_b32_e32 v159, 16, v53
	v_fmac_f16_e32 v58, v11, v52
	v_fma_f16 v11, v11, v152, -v9
	v_mul_f16_e64 v52, v116, v155
	v_fmac_f16_e32 v54, v105, v50
	v_mul_f16_e32 v9, v116, v59
	v_fma_f16 v50, v105, v153, -v8
	v_mul_f16_e64 v101, v115, v156
	v_mul_f16_e32 v8, v115, v57
	v_lshrrev_b32_e32 v160, 16, v51
	v_fmac_f16_e32 v52, v4, v59
	v_fma_f16 v59, v4, v155, -v9
	v_mul_f16_e64 v102, v114, v157
	v_fmac_f16_e32 v101, v5, v57
	v_mul_f16_e32 v4, v114, v55
	v_fma_f16 v57, v5, v156, -v8
	v_mul_f16_e64 v105, v113, v159
	v_mul_f16_e32 v5, v113, v53
	v_fmac_f16_e32 v102, v6, v55
	v_fma_f16 v55, v6, v157, -v4
	v_mul_f16_e64 v113, v112, v160
	v_fmac_f16_e32 v105, v7, v53
	v_mul_f16_e32 v6, v112, v51
	v_fma_f16 v53, v7, v159, -v5
	v_mul_f16_e32 v4, v111, v98
	v_mul_f16_e32 v7, v111, v45
	v_mul_f16_e32 v5, v110, v97
	v_mul_f16_e32 v8, v110, v48
	v_fmac_f16_e32 v113, v104, v51
	v_fma_f16 v51, v104, v160, -v6
	v_fmac_f16_e32 v4, v0, v45
	v_fma_f16 v6, v0, v98, -v7
	v_mul_f16_e64 v0, v109, v151
	v_fmac_f16_e32 v5, v1, v48
	v_mul_f16_e32 v9, v109, v49
	v_fma_f16 v7, v1, v97, -v8
	v_mul_f16_e64 v1, v108, v150
	v_fmac_f16_e32 v0, v2, v49
	v_mul_f16_e32 v45, v108, v42
	v_fma_f16 v8, v2, v151, -v9
	v_mul_f16_e64 v2, v107, v149
	v_fmac_f16_e32 v1, v3, v42
	v_add_f16_e64 v42, v161, v58
	v_lshrrev_b32_e32 v99, 16, v46
	v_mul_f16_e32 v9, v107, v43
	v_fmac_f16_e32 v2, v103, v43
	v_add_f16_e64 v43, v46, v161
	v_fma_f16 v42, -0.5, v42, v46
	v_sub_f16_e32 v46, v56, v11
	v_fma_f16 v3, v3, v150, -v45
	v_add_f16_e32 v45, v56, v11
	v_add_f16_e32 v43, v43, v58
	;; [unrolled: 1-line block ×3, first 2 shown]
	v_fmamk_f16 v49, v46, 0xbaee, v42
	v_fmac_f16_e32 v42, 0x3aee, v46
	v_add_f16_e32 v46, v10, v50
	v_fmac_f16_e32 v99, -0.5, v45
	v_sub_f16_e64 v45, v161, v58
	v_add_f16_e32 v56, v120, v54
	v_add_f16_e32 v58, v100, v10
	v_fmac_f16_e32 v100, -0.5, v46
	v_sub_f16_e32 v46, v120, v54
	v_add_f16_e32 v11, v48, v11
	v_fmamk_f16 v48, v45, 0x3aee, v99
	v_add_f16_e64 v97, v158, v120
	v_fmac_f16_e64 v158, -0.5, v56
	v_sub_f16_e32 v10, v10, v50
	v_fmac_f16_e32 v99, 0xbaee, v45
	v_fmamk_f16 v45, v46, 0x3aee, v100
	v_fmac_f16_e32 v100, 0xbaee, v46
	v_add_f16_e32 v46, v97, v54
	v_fma_f16 v54, 0xbaee, v10, v158
	v_fmac_f16_e64 v158, 0x3aee, v10
	v_mul_f16_e32 v10, 0xbaee, v45
	v_mul_f16_e32 v45, 0.5, v45
	v_mul_f16_e32 v56, 0xbaee, v100
	v_add_f16_e32 v50, v58, v50
	v_lshrrev_b32_e32 v154, 16, v47
	v_fmac_f16_e32 v10, 0.5, v54
	v_fmac_f16_e32 v45, 0x3aee, v54
	v_mul_f16_e32 v58, -0.5, v100
	v_fmac_f16_e64 v56, -0.5, v158
	v_add_f16_e32 v100, v11, v50
	v_add_f16_e32 v54, v49, v10
	v_sub_f16_e32 v108, v49, v10
	v_add_f16_e32 v10, v101, v105
	v_sub_f16_e32 v109, v11, v50
	v_add_f16_e32 v11, v47, v101
	v_fma_f16 v9, v103, v149, -v9
	v_add_f16_e32 v98, v42, v56
	v_fmac_f16_e32 v47, -0.5, v10
	v_sub_f16_e32 v10, v57, v53
	v_add_f16_e32 v103, v48, v45
	v_sub_f16_e32 v56, v42, v56
	v_sub_f16_e32 v110, v48, v45
	v_add_f16_e32 v42, v57, v53
	v_fmamk_f16 v45, v10, 0xbaee, v47
	v_fmac_f16_e32 v47, 0x3aee, v10
	v_add_f16_e32 v10, v55, v51
	v_add_f16_e32 v97, v43, v46
	v_sub_f16_e32 v107, v43, v46
	v_add_f16_e64 v43, v154, v57
	v_fmac_f16_e64 v154, -0.5, v42
	v_sub_f16_e32 v42, v101, v105
	v_add_f16_e32 v48, v102, v113
	v_add_f16_e32 v49, v59, v55
	v_fmac_f16_e32 v59, -0.5, v10
	v_sub_f16_e32 v10, v102, v113
	v_fma_f16 v46, 0x3aee, v42, v154
	v_add_f16_e32 v50, v52, v102
	v_fmac_f16_e32 v52, -0.5, v48
	v_sub_f16_e32 v48, v55, v51
	v_fmac_f16_e64 v154, 0xbaee, v42
	v_fmamk_f16 v42, v10, 0x3aee, v59
	v_fmac_f16_e32 v59, 0xbaee, v10
	v_add_f16_e32 v43, v43, v53
	v_add_f16_e32 v10, v50, v113
	v_fmamk_f16 v50, v48, 0xbaee, v52
	v_fmac_f16_e32 v52, 0x3aee, v48
	v_mul_f16_e32 v48, 0xbaee, v42
	v_mul_f16_e32 v53, 0xbaee, v59
	v_fmac_f16_e64 v58, 0x3aee, v158
	v_add_f16_e32 v49, v49, v51
	v_mul_f16_e32 v42, 0.5, v42
	v_fmac_f16_e32 v48, 0.5, v50
	v_fmac_f16_e32 v53, -0.5, v52
	v_add_f16_e32 v104, v99, v58
	v_sub_f16_e32 v58, v99, v58
	v_add_f16_e32 v11, v11, v105
	v_mul_f16_e32 v55, -0.5, v59
	v_fmac_f16_e32 v42, 0x3aee, v50
	v_add_f16_e32 v59, v45, v48
	v_add_f16_e32 v99, v47, v53
	;; [unrolled: 1-line block ×4, first 2 shown]
	v_sub_f16_e32 v112, v45, v48
	v_sub_f16_e32 v113, v47, v53
	;; [unrolled: 1-line block ×3, first 2 shown]
	v_add_f16_e32 v45, v3, v7
	v_lshrrev_b32_e32 v47, 16, v44
	v_add_f16_e32 v49, v9, v8
	v_add_f16_e32 v57, v11, v10
	;; [unrolled: 1-line block ×3, first 2 shown]
	v_sub_f16_e32 v111, v11, v10
	v_fma_f16 v10, -0.5, v50, v44
	v_sub_f16_e32 v43, v7, v3
	v_sub_f16_e32 v115, v46, v42
	v_add_f16_e32 v42, v2, v0
	v_fma_f16 v48, -0.5, v45, v47
	v_fma_f16 v45, -0.5, v49, v6
	v_sub_f16_e32 v46, v0, v2
	v_fmamk_f16 v11, v43, 0xbaee, v10
	v_fma_f16 v42, -0.5, v42, v4
	v_sub_f16_e32 v49, v8, v9
	v_fmac_f16_e32 v10, 0x3aee, v43
	v_fmamk_f16 v43, v46, 0x3aee, v45
	v_fmac_f16_e32 v45, 0xbaee, v46
	v_fmac_f16_e32 v55, 0x3aee, v52
	v_sub_f16_e32 v116, v5, v1
	v_fmamk_f16 v46, v49, 0xbaee, v42
	v_fmac_f16_e32 v42, 0x3aee, v49
	v_mul_f16_e32 v49, 0xbaee, v43
	v_mul_f16_e32 v50, 0xbaee, v45
	v_mul_f16_e32 v52, 0.5, v43
	v_mul_f16_e32 v53, -0.5, v45
	v_fmamk_f16 v51, v116, 0x3aee, v48
	v_fmac_f16_e32 v48, 0xbaee, v116
	v_fmac_f16_e32 v49, 0.5, v46
	v_fmac_f16_e32 v50, -0.5, v42
	v_fmac_f16_e32 v52, 0x3aee, v46
	v_fmac_f16_e32 v53, 0x3aee, v42
	v_pack_b32_f16 v97, v97, v100
	v_pack_b32_f16 v54, v54, v103
	v_add_f16_e64 v105, v154, v55
	v_sub_f16_e64 v55, v154, v55
	v_sub_f16_e32 v42, v11, v49
	v_sub_f16_e32 v43, v10, v50
	;; [unrolled: 1-line block ×4, first 2 shown]
	global_wb scope:SCOPE_SE
	s_barrier_signal -1
	s_barrier_wait -1
	global_inv scope:SCOPE_SE
	ds_store_2addr_b32 v96, v97, v54 offset1:3
	v_pack_b32_f16 v54, v98, v104
	v_pack_b32_f16 v97, v107, v109
	;; [unrolled: 1-line block ×10, first 2 shown]
	ds_store_2addr_b32 v96, v54, v97 offset0:6 offset1:9
	ds_store_2addr_b32 v96, v98, v56 offset0:12 offset1:15
	ds_store_2addr_b32 v95, v57, v58 offset1:3
	ds_store_2addr_b32 v95, v59, v99 offset0:6 offset1:9
	ds_store_2addr_b32 v95, v100, v55 offset0:12 offset1:15
	s_and_saveexec_b32 s1, s0
	s_cbranch_execz .LBB0_25
; %bb.24:
	v_add_f16_e32 v7, v7, v47
	v_add_f16_e32 v6, v8, v6
	;; [unrolled: 1-line block ×11, first 2 shown]
	v_sub_f16_e32 v5, v3, v4
	v_add_f16_e32 v3, v3, v4
	v_mul_u32_u24_e32 v4, 18, v94
	v_add_f16_e32 v7, v1, v0
	v_add_f16_e32 v9, v10, v50
	v_sub_f16_e32 v0, v1, v0
	v_pack_b32_f16 v2, v8, v2
	v_add_lshl_u32 v1, v4, v93, 2
	v_pack_b32_f16 v3, v7, v3
	v_pack_b32_f16 v4, v9, v6
	v_pack_b32_f16 v0, v0, v5
	v_perm_b32 v5, v45, v42, 0x5040100
	v_perm_b32 v6, v46, v43, 0x5040100
	ds_store_2addr_b32 v1, v3, v2 offset1:3
	ds_store_2addr_b32 v1, v4, v0 offset0:6 offset1:9
	ds_store_2addr_b32 v1, v5, v6 offset0:12 offset1:15
.LBB0_25:
	s_wait_alu 0xfffe
	s_or_b32 exec_lo, exec_lo, s1
	v_add_nc_u32_e32 v53, 0x200, v60
	global_wb scope:SCOPE_SE
	s_wait_dscnt 0x0
	s_barrier_signal -1
	s_barrier_wait -1
	global_inv scope:SCOPE_SE
	ds_load_2addr_b32 v[0:1], v60 offset1:54
	ds_load_2addr_b32 v[2:3], v60 offset0:108 offset1:162
	ds_load_2addr_b32 v[4:5], v53 offset0:88 offset1:142
	v_add_nc_u32_e32 v44, 0x400, v60
	v_add_nc_u32_e32 v47, 0x800, v60
	ds_load_2addr_b32 v[6:7], v44 offset0:68 offset1:122
	ds_load_2addr_b32 v[8:9], v44 offset0:176 offset1:230
	;; [unrolled: 1-line block ×3, first 2 shown]
	v_add_nc_u32_e32 v48, 0xa00, v60
	ds_load_2addr_b32 v[49:50], v47 offset0:136 offset1:190
	ds_load_2addr_b32 v[51:52], v48 offset0:116 offset1:170
	global_wb scope:SCOPE_SE
	s_wait_dscnt 0x0
	s_barrier_signal -1
	s_barrier_wait -1
	global_inv scope:SCOPE_SE
	v_lshrrev_b32_e32 v55, 16, v1
	v_lshrrev_b32_e32 v56, 16, v2
	;; [unrolled: 1-line block ×5, first 2 shown]
	v_mul_f16_e64 v101, v148, v55
	v_mul_f16_e64 v105, v147, v56
	;; [unrolled: 1-line block ×4, first 2 shown]
	v_lshrrev_b32_e32 v93, 16, v6
	v_fmac_f16_e32 v101, v20, v1
	v_mul_f16_e64 v1, v147, v2
	v_fmac_f16_e32 v105, v21, v2
	v_mul_f16_e64 v2, v146, v3
	v_lshrrev_b32_e32 v94, 16, v7
	v_lshrrev_b32_e32 v95, 16, v8
	v_fma_f16 v20, v20, v55, -v104
	v_fma_f16 v1, v21, v56, -v1
	v_fmac_f16_e32 v107, v22, v3
	v_mul_f16_e64 v3, v145, v58
	v_mul_f16_e64 v21, v145, v4
	v_fma_f16 v2, v22, v57, -v2
	v_mul_f16_e64 v22, v144, v59
	v_mul_f16_e64 v55, v144, v5
	v_lshrrev_b32_e32 v96, 16, v9
	v_fmac_f16_e32 v3, v23, v4
	v_fma_f16 v4, v23, v58, -v21
	v_mul_f16_e64 v21, v143, v93
	v_fmac_f16_e32 v22, v16, v5
	v_fma_f16 v5, v16, v59, -v55
	v_mul_f16_e64 v16, v143, v6
	v_mul_f16_e64 v23, v141, v94
	;; [unrolled: 1-line block ×3, first 2 shown]
	v_lshrrev_b32_e32 v97, 16, v10
	v_lshrrev_b32_e32 v98, 16, v11
	v_fmac_f16_e32 v21, v17, v6
	v_mul_f16_e64 v6, v141, v7
	v_fma_f16 v16, v17, v93, -v16
	v_fmac_f16_e32 v23, v18, v7
	v_mul_f16_e64 v7, v139, v8
	v_fmac_f16_e32 v55, v19, v8
	v_mul_f16_e64 v8, v137, v96
	v_mul_f16_e64 v17, v137, v9
	v_lshrrev_b32_e32 v99, 16, v49
	v_fma_f16 v6, v18, v94, -v6
	v_fma_f16 v7, v19, v95, -v7
	v_mul_f16_e64 v18, v135, v97
	v_mul_f16_e64 v19, v135, v10
	v_fmac_f16_e32 v8, v12, v9
	v_fma_f16 v9, v12, v96, -v17
	v_mul_f16_e64 v12, v133, v98
	v_lshrrev_b32_e32 v102, 16, v51
	v_fmac_f16_e32 v18, v13, v10
	v_fma_f16 v10, v13, v97, -v19
	v_mul_f16_e64 v13, v133, v11
	v_mul_f16_e64 v17, v131, v99
	v_fmac_f16_e32 v12, v14, v11
	v_mul_f16_e64 v11, v131, v49
	v_lshrrev_b32_e32 v100, 16, v50
	v_lshrrev_b32_e32 v54, 16, v0
	v_fmac_f16_e32 v17, v15, v49
	v_mul_f16_e32 v49, v127, v51
	v_fma_f16 v11, v15, v99, -v11
	v_mul_f16_e32 v15, v127, v102
	v_lshrrev_b32_e32 v103, 16, v52
	v_mul_f16_e64 v19, v129, v100
	v_fma_f16 v13, v14, v98, -v13
	v_mul_f16_e64 v14, v129, v50
	v_fmac_f16_e32 v15, v25, v51
	v_fma_f16 v25, v25, v102, -v49
	v_fmac_f16_e32 v19, v24, v50
	v_mul_f16_e32 v50, v125, v52
	v_fma_f16 v14, v24, v100, -v14
	v_mul_f16_e32 v24, v125, v103
	v_sub_f16_e32 v49, v0, v55
	v_sub_f16_e32 v7, v54, v7
	;; [unrolled: 1-line block ×6, first 2 shown]
	v_fmac_f16_e32 v24, v26, v52
	v_fma_f16 v26, v26, v103, -v50
	v_sub_f16_e32 v17, v3, v17
	v_fma_f16 v50, v54, 2.0, -v7
	v_fma_f16 v4, v4, 2.0, -v11
	v_sub_f16_e32 v15, v21, v15
	v_fma_f16 v1, v1, 2.0, -v10
	v_fma_f16 v16, v16, 2.0, -v25
	v_add_f16_e32 v11, v49, v11
	v_add_f16_e32 v25, v18, v25
	v_fma_f16 v0, v0, 2.0, -v49
	v_fma_f16 v3, v3, 2.0, -v17
	;; [unrolled: 1-line block ×3, first 2 shown]
	v_sub_f16_e32 v8, v101, v8
	v_fma_f16 v21, v21, 2.0, -v15
	v_sub_f16_e32 v19, v22, v19
	v_sub_f16_e32 v12, v107, v12
	;; [unrolled: 1-line block ×5, first 2 shown]
	v_fma_f16 v49, v49, 2.0, -v11
	v_sub_f16_e32 v16, v1, v16
	v_sub_f16_e32 v15, v10, v15
	v_fma_f16 v18, v18, 2.0, -v25
	v_sub_f16_e32 v9, v20, v9
	v_fma_f16 v52, v101, 2.0, -v8
	;; [unrolled: 2-line block ×5, first 2 shown]
	v_fma_f16 v50, v50, 2.0, -v4
	v_fma_f16 v7, v7, 2.0, -v17
	;; [unrolled: 1-line block ×4, first 2 shown]
	v_fmamk_f16 v55, v18, 0xb9a8, v49
	v_fma_f16 v5, v5, 2.0, -v14
	v_fma_f16 v6, v6, 2.0, -v26
	v_sub_f16_e32 v22, v52, v22
	v_add_f16_e32 v14, v8, v14
	v_sub_f16_e32 v19, v9, v19
	v_sub_f16_e32 v23, v54, v23
	v_add_f16_e32 v26, v12, v26
	v_sub_f16_e32 v24, v13, v24
	v_sub_f16_e32 v1, v50, v1
	v_fmamk_f16 v56, v10, 0xb9a8, v7
	v_fmac_f16_e32 v55, 0x39a8, v10
	v_fma_f16 v20, v20, 2.0, -v9
	v_fma_f16 v2, v2, 2.0, -v13
	;; [unrolled: 1-line block ×9, first 2 shown]
	v_fmac_f16_e32 v56, 0xb9a8, v18
	v_fma_f16 v18, v49, 2.0, -v55
	v_fmamk_f16 v49, v25, 0x39a8, v11
	v_fmamk_f16 v50, v15, 0x39a8, v17
	v_sub_f16_e32 v3, v0, v3
	v_sub_f16_e32 v21, v51, v21
	;; [unrolled: 1-line block ×3, first 2 shown]
	v_fmac_f16_e32 v49, 0x39a8, v15
	v_fmac_f16_e32 v50, 0xb9a8, v25
	v_fmamk_f16 v15, v12, 0xb9a8, v8
	v_sub_f16_e32 v25, v52, v54
	v_fmamk_f16 v54, v10, 0xb9a8, v9
	v_sub_f16_e32 v6, v2, v6
	v_fma_f16 v51, v51, 2.0, -v21
	v_fmac_f16_e32 v15, 0x39a8, v10
	v_add_f16_e32 v16, v3, v16
	v_fmac_f16_e32 v54, 0xb9a8, v12
	v_fmamk_f16 v12, v26, 0x39a8, v14
	v_fma_f16 v2, v2, 2.0, -v6
	v_sub_f16_e32 v21, v4, v21
	v_fma_f16 v7, v7, 2.0, -v56
	v_fma_f16 v10, v17, 2.0, -v50
	;; [unrolled: 1-line block ×4, first 2 shown]
	v_add_f16_e32 v6, v22, v6
	v_sub_f16_e32 v23, v5, v23
	v_fmamk_f16 v52, v24, 0x39a8, v19
	v_fma_f16 v9, v9, 2.0, -v54
	v_fmac_f16_e32 v12, 0x39a8, v24
	v_fma_f16 v0, v0, 2.0, -v3
	v_fma_f16 v20, v20, 2.0, -v5
	;; [unrolled: 1-line block ×7, first 2 shown]
	v_fmac_f16_e32 v52, 0xb9a8, v26
	v_fma_f16 v14, v14, 2.0, -v12
	v_fmamk_f16 v24, v8, 0xbb64, v18
	v_fmamk_f16 v26, v9, 0xbb64, v7
	v_sub_f16_e32 v51, v0, v51
	v_sub_f16_e32 v2, v20, v2
	v_fma_f16 v19, v19, 2.0, -v52
	v_fmac_f16_e32 v24, 0x361f, v9
	v_fmamk_f16 v9, v22, 0xb9a8, v3
	v_fmamk_f16 v57, v5, 0xb9a8, v4
	v_fmac_f16_e32 v26, 0xb61f, v8
	v_fmamk_f16 v8, v14, 0xb61f, v11
	v_fma_f16 v0, v0, 2.0, -v51
	v_fma_f16 v20, v20, 2.0, -v2
	v_fmac_f16_e32 v9, 0x39a8, v5
	v_fmac_f16_e32 v57, 0xb9a8, v22
	v_fmamk_f16 v5, v19, 0xb61f, v10
	v_fmac_f16_e32 v8, 0x3b64, v19
	v_sub_f16_e32 v19, v1, v25
	v_fmamk_f16 v22, v15, 0x361f, v55
	v_fmamk_f16 v25, v54, 0x361f, v56
	v_sub_f16_e32 v17, v0, v17
	v_sub_f16_e32 v20, v13, v20
	v_fmac_f16_e32 v5, 0xbb64, v14
	v_fmac_f16_e32 v22, 0x3b64, v54
	;; [unrolled: 1-line block ×3, first 2 shown]
	v_fmamk_f16 v54, v6, 0x39a8, v16
	v_fmamk_f16 v58, v23, 0x39a8, v21
	;; [unrolled: 1-line block ×4, first 2 shown]
	v_add_f16_e32 v2, v51, v2
	v_fma_f16 v0, v0, 2.0, -v17
	v_fma_f16 v13, v13, 2.0, -v20
	;; [unrolled: 1-line block ×4, first 2 shown]
	v_fmac_f16_e32 v54, 0x39a8, v23
	v_fmac_f16_e32 v58, 0xb9a8, v6
	;; [unrolled: 1-line block ×4, first 2 shown]
	v_fma_f16 v3, v3, 2.0, -v9
	v_fma_f16 v4, v4, 2.0, -v57
	;; [unrolled: 1-line block ×12, first 2 shown]
	v_pack_b32_f16 v0, v0, v13
	v_pack_b32_f16 v7, v18, v7
	;; [unrolled: 1-line block ×6, first 2 shown]
	ds_store_2addr_b32 v106, v0, v7 offset1:18
	ds_store_2addr_b32 v106, v3, v4 offset0:36 offset1:54
	ds_store_2addr_b32 v106, v1, v6 offset0:72 offset1:90
	v_pack_b32_f16 v0, v12, v16
	v_pack_b32_f16 v1, v21, v23
	v_pack_b32_f16 v3, v17, v20
	v_pack_b32_f16 v4, v24, v26
	v_pack_b32_f16 v6, v9, v57
	v_pack_b32_f16 v5, v8, v5
	v_pack_b32_f16 v2, v2, v19
	v_pack_b32_f16 v7, v22, v25
	v_pack_b32_f16 v8, v54, v58
	v_pack_b32_f16 v9, v14, v15
	v_add_nc_u32_e32 v10, 0x200, v106
	ds_store_2addr_b32 v106, v0, v1 offset0:108 offset1:126
	ds_store_2addr_b32 v106, v3, v4 offset0:144 offset1:162
	;; [unrolled: 1-line block ×5, first 2 shown]
	global_wb scope:SCOPE_SE
	s_wait_dscnt 0x0
	s_barrier_signal -1
	s_barrier_wait -1
	global_inv scope:SCOPE_SE
	ds_load_2addr_b32 v[4:5], v60 offset1:54
	ds_load_2addr_b32 v[0:1], v53 offset0:88 offset1:160
	ds_load_2addr_b32 v[12:13], v47 offset0:64 offset1:118
	;; [unrolled: 1-line block ×6, first 2 shown]
	ds_load_b32 v16, v60 offset:3168
	s_and_saveexec_b32 s0, vcc_lo
	s_cbranch_execz .LBB0_27
; %bb.26:
	ds_load_b32 v14, v60 offset:1080
	ds_load_b32 v42, v60 offset:2232
	ds_load_b32 v43, v60 offset:3384
	s_wait_dscnt 0x2
	v_lshrrev_b32_e32 v15, 16, v14
	s_wait_dscnt 0x1
	v_lshrrev_b32_e32 v45, 16, v42
	;; [unrolled: 2-line block ×3, first 2 shown]
.LBB0_27:
	s_wait_alu 0xfffe
	s_or_b32 exec_lo, exec_lo, s0
	s_wait_dscnt 0x6
	v_lshrrev_b32_e32 v18, 16, v1
	s_wait_dscnt 0x5
	v_lshrrev_b32_e32 v19, 16, v12
	;; [unrolled: 2-line block ×3, first 2 shown]
	v_mul_f16_e64 v54, v142, v1
	v_lshrrev_b32_e32 v22, 16, v13
	v_mul_f16_e64 v52, v142, v18
	v_mul_f16_e64 v56, v140, v19
	v_lshrrev_b32_e32 v24, 16, v11
	v_fma_f16 v18, v36, v18, -v54
	s_wait_dscnt 0x2
	v_lshrrev_b32_e32 v25, 16, v8
	v_fmac_f16_e32 v52, v36, v1
	v_mul_f16_e64 v1, v140, v12
	v_mul_f16_e64 v36, v138, v21
	v_fmac_f16_e32 v56, v37, v12
	v_mul_f16_e64 v12, v138, v10
	s_wait_dscnt 0x1
	v_lshrrev_b32_e32 v49, 16, v6
	v_fma_f16 v1, v37, v19, -v1
	v_mul_f16_e64 v19, v136, v22
	v_fmac_f16_e32 v36, v38, v10
	v_mul_f16_e64 v10, v136, v13
	v_fma_f16 v12, v38, v21, -v12
	v_mul_f16_e64 v21, v134, v24
	v_fmac_f16_e32 v19, v39, v13
	v_mul_f16_e64 v13, v134, v11
	v_fma_f16 v10, v39, v22, -v10
	v_mul_f16_e64 v22, v132, v25
	v_lshrrev_b32_e32 v50, 16, v9
	v_fmac_f16_e32 v21, v40, v11
	v_mul_f16_e64 v11, v132, v8
	v_lshrrev_b32_e32 v53, 16, v7
	v_fma_f16 v13, v40, v24, -v13
	v_mul_f16_e64 v24, v130, v49
	v_fmac_f16_e32 v22, v41, v8
	v_mul_f16_e64 v8, v130, v6
	v_fma_f16 v11, v41, v25, -v11
	v_mul_f16_e64 v25, v128, v50
	s_wait_dscnt 0x0
	v_lshrrev_b32_e32 v55, 16, v16
	v_fmac_f16_e32 v24, v34, v6
	v_mul_f16_e64 v6, v128, v9
	v_fma_f16 v8, v34, v49, -v8
	v_mul_f16_e32 v34, v126, v53
	v_fmac_f16_e32 v25, v35, v9
	v_mul_f16_e32 v9, v126, v7
	v_fma_f16 v6, v35, v50, -v6
	v_mul_f16_e32 v35, v124, v55
	v_fmac_f16_e32 v34, v32, v7
	v_mul_f16_e32 v7, v124, v16
	v_lshrrev_b32_e32 v17, 16, v4
	v_fma_f16 v9, v32, v53, -v9
	v_add_f16_e32 v32, v52, v56
	v_fmac_f16_e32 v35, v33, v16
	v_fma_f16 v7, v33, v55, -v7
	v_add_f16_e32 v33, v18, v1
	v_add_f16_e32 v16, v4, v52
	v_fma_f16 v4, -0.5, v32, v4
	v_sub_f16_e32 v32, v18, v1
	v_add_f16_e32 v18, v17, v18
	v_fmac_f16_e32 v17, -0.5, v33
	v_sub_f16_e32 v33, v52, v56
	v_lshrrev_b32_e32 v20, 16, v5
	v_fmamk_f16 v37, v32, 0xbaee, v4
	v_add_f16_e32 v1, v18, v1
	v_add_f16_e32 v18, v36, v19
	v_fmac_f16_e32 v4, 0x3aee, v32
	v_fmamk_f16 v32, v33, 0x3aee, v17
	v_add_f16_e32 v38, v5, v36
	v_fmac_f16_e32 v17, 0xbaee, v33
	v_add_f16_e32 v33, v12, v10
	v_fmac_f16_e32 v5, -0.5, v18
	v_sub_f16_e32 v18, v12, v10
	v_add_f16_e32 v12, v20, v12
	v_add_f16_e32 v38, v38, v19
	v_fmac_f16_e32 v20, -0.5, v33
	v_sub_f16_e32 v19, v36, v19
	v_lshrrev_b32_e32 v23, 16, v2
	v_add_f16_e32 v10, v12, v10
	v_add_f16_e32 v12, v21, v22
	v_fmamk_f16 v33, v18, 0xbaee, v5
	v_fmac_f16_e32 v5, 0x3aee, v18
	v_fmamk_f16 v18, v19, 0x3aee, v20
	v_fmac_f16_e32 v20, 0xbaee, v19
	v_add_f16_e32 v19, v13, v11
	v_add_f16_e32 v36, v2, v21
	v_fma_f16 v2, -0.5, v12, v2
	v_sub_f16_e32 v12, v13, v11
	v_add_f16_e32 v13, v23, v13
	v_fmac_f16_e32 v23, -0.5, v19
	v_sub_f16_e32 v19, v21, v22
	v_lshrrev_b32_e32 v26, 16, v3
	v_fmamk_f16 v21, v12, 0xbaee, v2
	v_fmac_f16_e32 v2, 0x3aee, v12
	v_add_f16_e32 v12, v24, v25
	v_add_f16_e32 v11, v13, v11
	v_fmamk_f16 v13, v19, 0x3aee, v23
	v_fmac_f16_e32 v23, 0xbaee, v19
	v_add_f16_e32 v19, v8, v6
	v_add_f16_e32 v36, v36, v22
	;; [unrolled: 1-line block ×3, first 2 shown]
	v_fmac_f16_e32 v3, -0.5, v12
	v_sub_f16_e32 v12, v8, v6
	v_add_f16_e32 v8, v26, v8
	v_fmac_f16_e32 v26, -0.5, v19
	v_sub_f16_e32 v19, v24, v25
	v_lshrrev_b32_e32 v51, 16, v0
	v_fmamk_f16 v24, v12, 0xbaee, v3
	v_add_f16_e32 v6, v8, v6
	v_add_f16_e32 v8, v34, v35
	v_fmac_f16_e32 v3, 0x3aee, v12
	v_fmamk_f16 v12, v19, 0x3aee, v26
	v_fmac_f16_e32 v26, 0xbaee, v19
	v_add_f16_e32 v19, v9, v7
	v_add_f16_e32 v22, v22, v25
	;; [unrolled: 1-line block ×3, first 2 shown]
	v_fmac_f16_e32 v0, -0.5, v8
	v_sub_f16_e32 v8, v9, v7
	v_add_f16_e32 v9, v51, v9
	v_add_f16_e32 v16, v16, v56
	v_fmac_f16_e32 v51, -0.5, v19
	v_sub_f16_e32 v19, v34, v35
	v_pack_b32_f16 v4, v4, v17
	v_add_f16_e32 v7, v9, v7
	v_pack_b32_f16 v9, v37, v32
	v_add_f16_e32 v25, v25, v35
	v_pack_b32_f16 v1, v16, v1
	v_pack_b32_f16 v10, v38, v10
	v_fmamk_f16 v34, v8, 0xbaee, v0
	v_fmac_f16_e32 v0, 0x3aee, v8
	v_fmamk_f16 v8, v19, 0x3aee, v51
	v_fmac_f16_e32 v51, 0xbaee, v19
	v_pack_b32_f16 v16, v33, v18
	v_pack_b32_f16 v13, v21, v13
	ds_store_b32 v60, v9 offset:1152
	ds_store_b32 v60, v4 offset:2304
	ds_store_2addr_b32 v60, v1, v10 offset1:54
	v_pack_b32_f16 v1, v5, v20
	v_pack_b32_f16 v2, v2, v23
	;; [unrolled: 1-line block ×9, first 2 shown]
	ds_store_2addr_b32 v44, v16, v13 offset0:86 offset1:140
	ds_store_2addr_b32 v47, v1, v2 offset0:118 offset1:172
	;; [unrolled: 1-line block ×3, first 2 shown]
	ds_store_b32 v60, v7 offset:864
	ds_store_2addr_b32 v44, v6, v8 offset0:194 offset1:248
	ds_store_2addr_b32 v48, v3, v0 offset0:98 offset1:152
	s_and_saveexec_b32 s0, vcc_lo
	s_cbranch_execz .LBB0_29
; %bb.28:
	v_mul_f16_e32 v0, v122, v43
	v_mul_f16_e32 v1, v123, v42
	;; [unrolled: 1-line block ×4, first 2 shown]
	s_delay_alu instid0(VALU_DEP_4) | instskip(NEXT) | instid1(VALU_DEP_4)
	v_fma_f16 v0, v31, v46, -v0
	v_fma_f16 v1, v30, v45, -v1
	s_delay_alu instid0(VALU_DEP_4) | instskip(NEXT) | instid1(VALU_DEP_4)
	v_fmac_f16_e32 v2, v30, v42
	v_fmac_f16_e32 v3, v31, v43
	s_delay_alu instid0(VALU_DEP_3) | instskip(SKIP_1) | instid1(VALU_DEP_3)
	v_add_f16_e32 v4, v1, v0
	v_add_f16_e32 v5, v1, v15
	v_add_f16_e32 v6, v2, v3
	v_add_f16_e32 v7, v2, v14
	v_sub_f16_e32 v2, v2, v3
	v_fmac_f16_e32 v15, -0.5, v4
	v_sub_f16_e32 v1, v1, v0
	v_fmac_f16_e32 v14, -0.5, v6
	v_add_f16_e32 v0, v0, v5
	v_add_f16_e32 v3, v7, v3
	v_fmamk_f16 v4, v2, 0xbaee, v15
	v_fmac_f16_e32 v15, 0x3aee, v2
	v_fmamk_f16 v2, v1, 0x3aee, v14
	v_fmac_f16_e32 v14, 0xbaee, v1
	v_pack_b32_f16 v0, v3, v0
	s_delay_alu instid0(VALU_DEP_3) | instskip(NEXT) | instid1(VALU_DEP_3)
	v_pack_b32_f16 v2, v2, v4
	v_pack_b32_f16 v1, v14, v15
	ds_store_b32 v60, v0 offset:1080
	ds_store_b32 v60, v1 offset:2232
	;; [unrolled: 1-line block ×3, first 2 shown]
.LBB0_29:
	s_wait_alu 0xfffe
	s_or_b32 exec_lo, exec_lo, s0
	global_wb scope:SCOPE_SE
	s_wait_dscnt 0x0
	s_barrier_signal -1
	s_barrier_wait -1
	global_inv scope:SCOPE_SE
	ds_load_2addr_b32 v[4:5], v60 offset1:54
	v_add_nc_u32_e32 v0, 0x200, v60
	v_add_nc_u32_e32 v6, 0x800, v60
	s_mov_b32 s6, 0xbda12f68
	s_mov_b32 s7, 0x3f52f684
	v_mad_co_u64_u32 v[17:18], null, s10, v29, 0
	ds_load_2addr_b32 v[0:1], v0 offset0:88 offset1:160
	ds_load_2addr_b32 v[2:3], v6 offset0:64 offset1:118
	v_mad_co_u64_u32 v[19:20], null, s8, v85, 0
	s_wait_dscnt 0x2
	v_lshrrev_b32_e32 v7, 16, v4
	v_mul_f16_e32 v8, v92, v4
	s_delay_alu instid0(VALU_DEP_2) | instskip(NEXT) | instid1(VALU_DEP_2)
	v_mul_f16_e32 v9, v92, v7
	v_fma_f16 v7, v87, v7, -v8
	s_wait_dscnt 0x1
	v_lshrrev_b32_e32 v11, 16, v1
	v_mul_f16_e32 v10, v91, v1
	s_wait_dscnt 0x0
	v_lshrrev_b32_e32 v14, 16, v2
	v_fmac_f16_e32 v9, v87, v4
	v_cvt_f32_f16_e32 v4, v7
	v_mul_f16_e32 v13, v91, v11
	s_delay_alu instid0(VALU_DEP_3) | instskip(NEXT) | instid1(VALU_DEP_3)
	v_cvt_f32_f16_e32 v9, v9
	v_cvt_f64_f32_e32 v[7:8], v4
	v_fma_f16 v4, v88, v11, -v10
	s_delay_alu instid0(VALU_DEP_4) | instskip(NEXT) | instid1(VALU_DEP_4)
	v_fmac_f16_e32 v13, v88, v1
	v_cvt_f64_f32_e32 v[9:10], v9
	s_delay_alu instid0(VALU_DEP_3) | instskip(NEXT) | instid1(VALU_DEP_3)
	v_cvt_f32_f16_e32 v4, v4
	v_cvt_f32_f16_e32 v1, v13
	v_mul_f16_e32 v13, v90, v2
	s_delay_alu instid0(VALU_DEP_3) | instskip(SKIP_1) | instid1(VALU_DEP_3)
	v_cvt_f64_f32_e32 v[11:12], v4
	v_mul_f16_e32 v4, v90, v14
	v_fma_f16 v15, v89, v14, -v13
	s_delay_alu instid0(VALU_DEP_2) | instskip(SKIP_1) | instid1(VALU_DEP_2)
	v_fmac_f16_e32 v4, v89, v2
	v_cvt_f64_f32_e32 v[1:2], v1
	v_cvt_f32_f16_e32 v4, v4
	s_delay_alu instid0(VALU_DEP_1) | instskip(SKIP_1) | instid1(VALU_DEP_1)
	v_cvt_f64_f32_e32 v[13:14], v4
	v_cvt_f32_f16_e32 v4, v15
	v_cvt_f64_f32_e32 v[15:16], v4
	s_wait_alu 0xfffe
	v_mul_f64_e32 v[7:8], s[6:7], v[7:8]
	v_mul_f64_e32 v[9:10], s[6:7], v[9:10]
	v_mul_f64_e32 v[11:12], s[6:7], v[11:12]
	v_mul_f64_e32 v[1:2], s[6:7], v[1:2]
	v_mul_f64_e32 v[13:14], s[6:7], v[13:14]
	v_mul_f64_e32 v[15:16], s[6:7], v[15:16]
	v_and_or_b32 v7, 0x1ff, v8, v7
	v_bfe_u32 v25, v10, 20, 11
	v_mov_b32_e32 v4, v18
	v_mov_b32_e32 v18, v20
	v_and_or_b32 v9, 0x1ff, v10, v9
	v_lshrrev_b32_e32 v24, 8, v10
	v_sub_nc_u32_e32 v31, 0x3f1, v25
	v_add_nc_u32_e32 v25, 0xfffffc10, v25
	v_mad_co_u64_u32 v[20:21], null, s11, v29, v[4:5]
	v_mad_co_u64_u32 v[21:22], null, s9, v85, v[18:19]
	v_and_or_b32 v11, 0x1ff, v12, v11
	v_bfe_u32 v30, v12, 20, 11
	v_lshrrev_b32_e32 v29, 8, v12
	v_and_or_b32 v1, 0x1ff, v2, v1
	v_mov_b32_e32 v18, v20
	v_bfe_u32 v32, v2, 20, 11
	v_sub_nc_u32_e32 v33, 0x3f1, v30
	v_add_nc_u32_e32 v30, 0xfffffc10, v30
	v_lshrrev_b32_e32 v4, 16, v5
	v_lshlrev_b64_e32 v[17:18], 2, v[17:18]
	v_sub_nc_u32_e32 v37, 0x3f1, v32
	v_add_nc_u32_e32 v32, 0xfffffc10, v32
	v_and_or_b32 v13, 0x1ff, v14, v13
	v_lshrrev_b32_e32 v10, 16, v10
	v_lshrrev_b32_e32 v34, 8, v14
	v_add_co_u32 v22, s0, s4, v17
	s_wait_alu 0xf1ff
	v_add_co_ci_u32_e64 v23, s0, s5, v18, s0
	v_cmp_ne_u32_e64 s0, 0, v7
	v_lshrrev_b32_e32 v17, 8, v8
	v_bfe_u32 v18, v8, 20, 11
	v_cmp_gt_i32_e64 s2, 1, v32
	v_lshrrev_b32_e32 v8, 16, v8
	s_wait_alu 0xf1ff
	v_cndmask_b32_e64 v7, 0, 1, s0
	v_cmp_ne_u32_e64 s0, 0, v9
	v_sub_nc_u32_e32 v26, 0x3f1, v18
	v_add_nc_u32_e32 v18, 0xfffffc10, v18
	v_bfe_u32 v35, v14, 20, 11
	v_and_or_b32 v7, 0xffe, v17, v7
	s_wait_alu 0xf1ff
	v_cndmask_b32_e64 v9, 0, 1, s0
	v_cmp_ne_u32_e64 s0, 0, v11
	v_med3_i32 v17, v26, 0, 13
	v_lshrrev_b32_e32 v26, 8, v2
	v_lshl_or_b32 v36, v18, 12, v7
	v_and_or_b32 v9, 0xffe, v24, v9
	s_wait_alu 0xf1ff
	v_cndmask_b32_e64 v11, 0, 1, s0
	v_cmp_ne_u32_e64 s0, 0, v7
	v_med3_i32 v24, v31, 0, 13
	v_or_b32_e32 v31, 0x1000, v7
	v_lshl_or_b32 v38, v25, 12, v9
	v_and_or_b32 v11, 0xffe, v29, v11
	s_wait_alu 0xf1ff
	v_cndmask_b32_e64 v7, 0, 1, s0
	v_cmp_ne_u32_e64 s0, 0, v1
	v_med3_i32 v29, v33, 0, 13
	v_or_b32_e32 v33, 0x1000, v9
	v_lshrrev_b32_e32 v39, v17, v31
	v_lshl_or_b32 v40, v30, 12, v11
	s_wait_alu 0xf1ff
	v_cndmask_b32_e64 v1, 0, 1, s0
	v_cmp_ne_u32_e64 s0, 0, v13
	v_lshrrev_b32_e32 v41, v24, v33
	v_lshlrev_b32_e32 v17, v17, v39
	v_lshl_or_b32 v7, v7, 9, 0x7c00
	v_and_or_b32 v1, 0xffe, v26, v1
	s_wait_alu 0xf1ff
	v_cndmask_b32_e64 v13, 0, 1, s0
	v_cmp_ne_u32_e64 s0, 0, v9
	v_med3_i32 v26, v37, 0, 13
	v_or_b32_e32 v37, 0x1000, v11
	v_or_b32_e32 v42, 0x1000, v1
	v_lshl_or_b32 v43, v32, 12, v1
	s_wait_alu 0xf1ff
	v_cndmask_b32_e64 v9, 0, 1, s0
	v_cmp_ne_u32_e64 s0, 0, v1
	v_lshrrev_b32_e32 v44, v29, v37
	v_lshlrev_b32_e32 v24, v24, v41
	v_cmp_eq_u32_e64 s4, 0x40f, v18
	v_lshl_or_b32 v9, v9, 9, 0x7c00
	s_wait_alu 0xf1ff
	v_cndmask_b32_e64 v1, 0, 1, s0
	v_lshlrev_b32_e32 v29, v29, v44
	v_cmp_ne_u32_e64 s0, v17, v31
	v_lshrrev_b32_e32 v31, v26, v42
	v_and_or_b32 v13, 0xffe, v34, v13
	v_lshl_or_b32 v1, v1, 9, 0x7c00
	v_and_or_b32 v15, 0x1ff, v16, v15
	s_wait_alu 0xf1ff
	v_cndmask_b32_e64 v17, 0, 1, s0
	v_cmp_ne_u32_e64 s0, v24, v33
	v_lshlrev_b32_e32 v26, v26, v31
	v_lshrrev_b32_e32 v14, 16, v14
	s_delay_alu instid0(VALU_DEP_4) | instskip(SKIP_3) | instid1(VALU_DEP_2)
	v_or_b32_e32 v17, v39, v17
	s_wait_alu 0xf1ff
	v_cndmask_b32_e64 v24, 0, 1, s0
	v_cmp_ne_u32_e64 s0, v29, v37
	v_or_b32_e32 v24, v41, v24
	s_wait_alu 0xf1ff
	s_delay_alu instid0(VALU_DEP_2) | instskip(SKIP_1) | instid1(VALU_DEP_2)
	v_cndmask_b32_e64 v29, 0, 1, s0
	v_cmp_gt_i32_e64 s0, 1, v18
	v_or_b32_e32 v29, v44, v29
	s_wait_alu 0xf1ff
	s_delay_alu instid0(VALU_DEP_2) | instskip(SKIP_3) | instid1(VALU_DEP_4)
	v_cndmask_b32_e64 v17, v36, v17, s0
	v_cmp_ne_u32_e64 s0, v26, v42
	v_mov_b32_e32 v20, v21
	v_mul_f16_e32 v21, v86, v4
	v_and_b32_e32 v33, 7, v17
	s_wait_alu 0xf1ff
	v_cndmask_b32_e64 v26, 0, 1, s0
	v_cmp_gt_i32_e64 s0, 1, v25
	v_lshrrev_b32_e32 v17, 2, v17
	v_fmac_f16_e32 v21, v83, v5
	v_cmp_eq_u32_e64 s1, 3, v33
	v_or_b32_e32 v26, v31, v26
	s_wait_alu 0xf1ff
	v_cndmask_b32_e64 v24, v38, v24, s0
	v_cmp_gt_i32_e64 s0, 1, v30
	v_lshlrev_b64_e32 v[19:20], 2, v[19:20]
	v_mul_f16_e32 v5, v86, v5
	v_cndmask_b32_e64 v26, v43, v26, s2
	v_and_b32_e32 v31, 7, v24
	s_wait_alu 0xf1ff
	v_cndmask_b32_e64 v29, v40, v29, s0
	v_cmp_lt_i32_e64 s0, 5, v33
	v_lshrrev_b32_e32 v24, 2, v24
	v_fma_f16 v4, v83, v4, -v5
	v_cmp_lt_i32_e64 s2, 5, v31
	v_cmp_eq_u32_e64 s3, 3, v31
	s_or_b32 s0, s1, s0
	v_cmp_gt_i32_e64 s1, 31, v25
	s_wait_alu 0xfffe
	v_add_co_ci_u32_e64 v17, s0, 0, v17, s0
	s_or_b32 s0, s3, s2
	v_cmp_eq_u32_e64 s2, 0x40f, v25
	s_wait_alu 0xfffe
	v_add_co_ci_u32_e64 v24, s0, 0, v24, s0
	v_and_b32_e32 v33, 7, v29
	v_and_b32_e32 v31, 7, v26
	v_lshrrev_b32_e32 v29, 2, v29
	s_delay_alu instid0(VALU_DEP_4)
	v_cndmask_b32_e64 v24, 0x7c00, v24, s1
	v_cmp_gt_i32_e64 s1, 31, v18
	v_cmp_lt_i32_e64 s0, 5, v33
	v_cmp_eq_u32_e64 s3, 3, v33
	v_lshrrev_b32_e32 v26, 2, v26
	s_wait_alu 0xf1ff
	v_cndmask_b32_e64 v9, v24, v9, s2
	v_cndmask_b32_e64 v17, 0x7c00, v17, s1
	v_cmp_lt_i32_e64 s1, 5, v31
	v_cmp_eq_u32_e64 s2, 3, v31
	s_or_b32 s0, s3, s0
	v_and_or_b32 v9, 0x8000, v10, v9
	v_cndmask_b32_e64 v7, v17, v7, s4
	v_sub_nc_u32_e32 v18, 0x3f1, v35
	s_or_b32 s1, s2, s1
	v_lshrrev_b32_e32 v25, 16, v2
	s_wait_alu 0xfffe
	v_add_co_ci_u32_e64 v10, s1, 0, v26, s1
	v_and_or_b32 v7, 0x8000, v8, v7
	v_and_b32_e32 v8, 0xffff, v9
	v_add_co_ci_u32_e64 v9, s0, 0, v29, s0
	v_cmp_gt_i32_e64 s0, 31, v32
	v_med3_i32 v18, v18, 0, 13
	s_delay_alu instid0(VALU_DEP_4)
	v_lshl_or_b32 v17, v7, 16, v8
	v_cvt_f32_f16_e32 v7, v21
	v_or_b32_e32 v21, 0x1000, v13
	s_wait_alu 0xf1ff
	v_cndmask_b32_e64 v10, 0x7c00, v10, s0
	v_cmp_ne_u32_e64 s0, 0, v11
	v_cvt_f32_f16_e32 v4, v4
	v_cvt_f64_f32_e32 v[7:8], v7
	v_lshrrev_b32_e32 v24, v18, v21
	s_wait_alu 0xf1ff
	v_cndmask_b32_e64 v11, 0, 1, s0
	v_cmp_gt_i32_e64 s0, 31, v30
	s_delay_alu instid0(VALU_DEP_2) | instskip(SKIP_1) | instid1(VALU_DEP_2)
	v_lshl_or_b32 v11, v11, 9, 0x7c00
	s_wait_alu 0xf1ff
	v_cndmask_b32_e64 v9, 0x7c00, v9, s0
	v_cmp_eq_u32_e64 s0, 0x40f, v32
	s_wait_alu 0xf1ff
	s_delay_alu instid0(VALU_DEP_1) | instskip(SKIP_1) | instid1(VALU_DEP_2)
	v_cndmask_b32_e64 v10, v10, v1, s0
	v_cmp_eq_u32_e64 s0, 0x40f, v30
	v_and_or_b32 v10, 0x8000, v25, v10
	s_wait_alu 0xf1ff
	s_delay_alu instid0(VALU_DEP_2)
	v_cndmask_b32_e64 v9, v9, v11, s0
	v_lshrrev_b32_e32 v11, 16, v12
	v_lshlrev_b32_e32 v12, v18, v24
	v_add_co_u32 v1, s0, v22, v19
	s_wait_alu 0xf1ff
	v_add_co_ci_u32_e64 v2, s0, v23, v20, s0
	s_delay_alu instid0(VALU_DEP_3)
	v_cmp_ne_u32_e64 s0, v12, v21
	v_and_or_b32 v18, 0x8000, v11, v9
	v_add_nc_u32_e32 v19, 0xfffffc10, v35
	v_lshrrev_b32_e32 v12, 8, v16
	global_store_b32 v[1:2], v17, off
	s_wait_alu 0xf1ff
	v_cndmask_b32_e64 v9, 0, 1, s0
	v_cmp_ne_u32_e64 s0, 0, v15
	v_bfe_u32 v15, v16, 20, 11
	v_lshl_or_b32 v20, v19, 12, v13
	s_delay_alu instid0(VALU_DEP_4)
	v_or_b32_e32 v9, v24, v9
	s_wait_alu 0xf1ff
	v_cndmask_b32_e64 v11, 0, 1, s0
	v_cmp_gt_i32_e64 s0, 1, v19
	v_sub_nc_u32_e32 v5, 0x3f1, v15
	v_add_nc_u32_e32 v15, 0xfffffc10, v15
	s_delay_alu instid0(VALU_DEP_4)
	v_and_or_b32 v21, 0xffe, v12, v11
	s_wait_alu 0xf1ff
	v_cndmask_b32_e64 v12, v20, v9, s0
	v_mul_f64_e32 v[8:9], s[6:7], v[7:8]
	v_and_b32_e32 v7, 0xffff, v10
	v_cvt_f64_f32_e32 v[10:11], v4
	v_or_b32_e32 v20, 0x1000, v21
	v_med3_i32 v5, v5, 0, 13
	v_and_b32_e32 v4, 7, v12
	s_mul_u64 s[0:1], s[8:9], 0x120
	v_lshrrev_b32_e32 v12, 2, v12
	s_wait_alu 0xfffe
	s_lshl_b64 s[4:5], s[0:1], 2
	v_lshrrev_b32_e32 v17, v5, v20
	v_cmp_lt_i32_e64 s0, 5, v4
	v_cmp_eq_u32_e64 s1, 3, v4
	v_lshl_or_b32 v18, v18, 16, v7
	v_add_nc_u32_e32 v7, 0x400, v60
	v_lshlrev_b32_e32 v5, v5, v17
	s_delay_alu instid0(VALU_DEP_4) | instskip(SKIP_2) | instid1(VALU_DEP_2)
	s_or_b32 s0, s1, s0
	s_wait_alu 0xfffe
	v_add_co_ci_u32_e64 v12, s0, 0, v12, s0
	v_cmp_ne_u32_e64 s2, v5, v20
	v_cmp_ne_u32_e64 s0, 0, v13
	ds_load_2addr_b32 v[4:5], v7 offset0:86 offset1:140
	s_wait_alu 0xf1ff
	v_cndmask_b32_e64 v20, 0, 1, s2
	v_cndmask_b32_e64 v13, 0, 1, s0
	v_cmp_gt_i32_e64 s0, 31, v19
	s_delay_alu instid0(VALU_DEP_3) | instskip(SKIP_2) | instid1(VALU_DEP_3)
	v_or_b32_e32 v17, v17, v20
	v_lshl_or_b32 v20, v15, 12, v21
	s_wait_alu 0xf1ff
	v_cndmask_b32_e64 v24, 0x7c00, v12, s0
	v_cmp_gt_i32_e64 s0, 1, v15
	v_lshl_or_b32 v25, v13, 9, 0x7c00
	s_wait_alu 0xf1ff
	s_delay_alu instid0(VALU_DEP_2)
	v_cndmask_b32_e64 v17, v20, v17, s0
	v_add_co_u32 v12, s0, v1, s4
	s_wait_alu 0xf1ff
	v_add_co_ci_u32_e64 v13, s0, s5, v2, s0
	v_cmp_eq_u32_e64 s0, 0x40f, v19
	v_mul_f64_e32 v[1:2], s[6:7], v[10:11]
	v_and_or_b32 v8, 0x1ff, v9, v8
	v_and_b32_e32 v20, 7, v17
	v_lshrrev_b32_e32 v10, 2, v17
	s_wait_alu 0xf1ff
	v_cndmask_b32_e64 v19, v24, v25, s0
	s_wait_dscnt 0x0
	v_lshrrev_b32_e32 v24, 16, v4
	v_cmp_ne_u32_e64 s2, 0, v8
	v_cmp_lt_i32_e64 s0, 5, v20
	v_cmp_eq_u32_e64 s1, 3, v20
	v_lshrrev_b32_e32 v17, 8, v9
	v_mul_f16_e32 v11, v84, v24
	s_wait_alu 0xf1ff
	v_cndmask_b32_e64 v8, 0, 1, s2
	v_bfe_u32 v20, v9, 20, 11
	s_or_b32 s0, s1, s0
	v_and_or_b32 v30, 0x8000, v14, v19
	v_fmac_f16_e32 v11, v81, v4
	s_wait_alu 0xfffe
	v_add_co_ci_u32_e64 v25, s0, 0, v10, s0
	v_and_or_b32 v8, 0xffe, v17, v8
	v_sub_nc_u32_e32 v10, 0x3f1, v20
	v_cvt_f32_f16_e32 v11, v11
	v_cmp_ne_u32_e64 s0, 0, v21
	v_mul_f16_e32 v4, v84, v4
	v_or_b32_e32 v21, 0x1000, v8
	v_med3_i32 v26, v10, 0, 13
	v_cvt_f64_f32_e32 v[10:11], v11
	s_wait_alu 0xf1ff
	v_cndmask_b32_e64 v17, 0, 1, s0
	v_cmp_gt_i32_e64 s0, 31, v15
	v_fma_f16 v4, v81, v24, -v4
	v_lshrrev_b32_e32 v29, v26, v21
	v_add_nc_u32_e32 v20, 0xfffffc10, v20
	v_lshl_or_b32 v17, v17, 9, 0x7c00
	s_wait_alu 0xf1ff
	v_cndmask_b32_e64 v25, 0x7c00, v25, s0
	v_cmp_eq_u32_e64 s0, 0x40f, v15
	v_mad_co_u64_u32 v[14:15], null, s8, v79, 0
	v_cvt_f32_f16_e32 v4, v4
	global_store_b32 v[12:13], v18, off
	s_wait_alu 0xf1ff
	v_cndmask_b32_e64 v25, v25, v17, s0
	v_lshlrev_b32_e32 v17, v26, v29
	v_lshrrev_b32_e32 v26, 16, v16
	v_bfe_u32 v31, v2, 20, 11
	v_lshrrev_b32_e32 v9, 16, v9
	v_mad_co_u64_u32 v[12:13], null, 0xfffffc58, s8, v[12:13]
	v_cmp_ne_u32_e64 s0, v17, v21
	v_and_or_b32 v17, 0x1ff, v2, v1
	v_mov_b32_e32 v1, v15
	v_lshl_or_b32 v21, v20, 12, v8
	s_wait_alu 0xf1ff
	v_cndmask_b32_e64 v16, 0, 1, s0
	v_cmp_ne_u32_e64 s0, 0, v17
	v_mad_co_u64_u32 v[18:19], null, s9, v79, v[1:2]
	v_and_or_b32 v19, 0x8000, v26, v25
	s_delay_alu instid0(VALU_DEP_4)
	v_or_b32_e32 v15, v29, v16
	s_wait_alu 0xf1ff
	v_cndmask_b32_e64 v24, 0, 1, s0
	v_cvt_f64_f32_e32 v[16:17], v4
	v_cmp_gt_i32_e64 s0, 1, v20
	v_lshrrev_b32_e32 v29, 8, v2
	v_and_b32_e32 v26, 0xffff, v30
	v_lshrrev_b32_e32 v2, 16, v2
	s_wait_alu 0xf1ff
	v_cndmask_b32_e64 v1, v21, v15, s0
	v_and_or_b32 v4, 0xffe, v29, v24
	v_sub_nc_u32_e32 v15, 0x3f1, v31
	v_mul_f64_e32 v[10:11], s[6:7], v[10:11]
	s_delay_alu instid0(VALU_DEP_4) | instskip(NEXT) | instid1(VALU_DEP_4)
	v_and_b32_e32 v21, 7, v1
	v_or_b32_e32 v24, 0x1000, v4
	s_delay_alu instid0(VALU_DEP_4)
	v_med3_i32 v25, v15, 0, 13
	v_lshrrev_b32_e32 v1, 2, v1
	v_mov_b32_e32 v15, v18
	v_cmp_lt_i32_e64 s0, 5, v21
	v_cmp_eq_u32_e64 s1, 3, v21
	v_lshrrev_b32_e32 v18, v25, v24
	v_lshl_or_b32 v21, v19, 16, v26
	v_lshlrev_b64_e32 v[14:15], 2, v[14:15]
	s_delay_alu instid0(VALU_DEP_4) | instskip(NEXT) | instid1(VALU_DEP_3)
	s_or_b32 s0, s1, s0
	v_lshlrev_b32_e32 v19, v25, v18
	s_wait_alu 0xfffe
	v_add_co_ci_u32_e64 v1, s0, 0, v1, s0
	v_cmp_ne_u32_e64 s0, 0, v8
	v_lshrrev_b32_e32 v25, 16, v3
	s_wait_alu 0xf1ff
	s_delay_alu instid0(VALU_DEP_2) | instskip(SKIP_3) | instid1(VALU_DEP_4)
	v_cndmask_b32_e64 v8, 0, 1, s0
	v_cmp_ne_u32_e64 s0, v19, v24
	v_add_nc_u32_e32 v24, 0xfffffc10, v31
	v_mul_f16_e32 v26, v82, v25
	v_lshl_or_b32 v8, v8, 9, 0x7c00
	s_wait_alu 0xf1ff
	v_cndmask_b32_e64 v19, 0, 1, s0
	v_cmp_gt_i32_e64 s0, 31, v20
	v_fmac_f16_e32 v26, v80, v3
	v_mul_f64_e32 v[16:17], s[6:7], v[16:17]
	v_mul_f16_e32 v3, v82, v3
	v_or_b32_e32 v18, v18, v19
	s_wait_alu 0xf1ff
	v_cndmask_b32_e64 v1, 0x7c00, v1, s0
	v_lshl_or_b32 v19, v24, 12, v4
	v_cmp_gt_i32_e64 s0, 1, v24
	v_fma_f16 v3, v80, v25, -v3
	s_wait_alu 0xf1ff
	s_delay_alu instid0(VALU_DEP_2)
	v_cndmask_b32_e64 v29, v19, v18, s0
	v_cvt_f32_f16_e32 v18, v26
	v_add_co_u32 v14, s0, v22, v14
	s_wait_alu 0xf1ff
	v_add_co_ci_u32_e64 v15, s0, v23, v15, s0
	v_cmp_eq_u32_e64 s0, 0x40f, v20
	v_and_b32_e32 v22, 7, v29
	v_cvt_f64_f32_e32 v[18:19], v18
	v_lshrrev_b32_e32 v20, 8, v11
	global_store_b32 v[14:15], v21, off
	s_wait_alu 0xf1ff
	v_cndmask_b32_e64 v1, v1, v8, s0
	v_and_or_b32 v8, 0x1ff, v11, v10
	v_cmp_lt_i32_e64 s0, 5, v22
	v_cmp_eq_u32_e64 s1, 3, v22
	v_lshrrev_b32_e32 v10, 2, v29
	v_bfe_u32 v22, v11, 20, 11
	v_cmp_ne_u32_e64 s2, 0, v8
	v_lshrrev_b32_e32 v11, 16, v11
	s_or_b32 s0, s1, s0
	s_wait_alu 0xfffe
	v_add_co_ci_u32_e64 v10, s0, 0, v10, s0
	v_cndmask_b32_e64 v8, 0, 1, s2
	v_cmp_ne_u32_e64 s0, 0, v4
	s_delay_alu instid0(VALU_DEP_2) | instskip(SKIP_1) | instid1(VALU_DEP_2)
	v_and_or_b32 v20, 0xffe, v20, v8
	s_wait_alu 0xf1ff
	v_cndmask_b32_e64 v4, 0, 1, s0
	v_sub_nc_u32_e32 v8, 0x3f1, v22
	v_cmp_gt_i32_e64 s0, 31, v24
	v_and_or_b32 v16, 0x1ff, v17, v16
	v_or_b32_e32 v23, 0x1000, v20
	v_lshl_or_b32 v4, v4, 9, 0x7c00
	v_med3_i32 v8, v8, 0, 13
	s_wait_alu 0xf1ff
	v_cndmask_b32_e64 v10, 0x7c00, v10, s0
	v_cmp_eq_u32_e64 s0, 0x40f, v24
	v_and_or_b32 v24, 0x8000, v9, v1
	v_lshrrev_b32_e32 v26, 8, v17
	v_bfe_u32 v29, v17, 20, 11
	v_lshrrev_b32_e32 v17, 16, v17
	s_wait_alu 0xf1ff
	v_cndmask_b32_e64 v4, v10, v4, s0
	v_lshrrev_b32_e32 v10, v8, v23
	v_cmp_ne_u32_e64 s0, 0, v16
	s_delay_alu instid0(VALU_DEP_3) | instskip(NEXT) | instid1(VALU_DEP_3)
	v_and_or_b32 v25, 0x8000, v2, v4
	v_lshlrev_b32_e32 v1, v8, v10
	v_cvt_f32_f16_e32 v2, v3
	s_wait_alu 0xf1ff
	v_cndmask_b32_e64 v16, 0, 1, s0
	v_mul_f64_e32 v[3:4], s[6:7], v[18:19]
	v_add_nc_u32_e32 v19, 0xfffffc10, v22
	v_cmp_ne_u32_e64 s0, v1, v23
	v_cvt_f64_f32_e32 v[8:9], v2
	ds_load_2addr_b32 v[1:2], v60 offset0:108 offset1:162
	v_and_or_b32 v16, 0xffe, v26, v16
	v_sub_nc_u32_e32 v22, 0x3f1, v29
	s_wait_alu 0xf1ff
	v_cndmask_b32_e64 v18, 0, 1, s0
	v_cmp_gt_i32_e64 s0, 1, v19
	v_and_b32_e32 v23, 0xffff, v24
	v_or_b32_e32 v24, 0x1000, v16
	v_med3_i32 v22, v22, 0, 13
	v_or_b32_e32 v10, v10, v18
	v_lshl_or_b32 v18, v19, 12, v20
	s_delay_alu instid0(VALU_DEP_3) | instskip(SKIP_1) | instid1(VALU_DEP_2)
	v_lshrrev_b32_e32 v14, v22, v24
	s_wait_alu 0xf1ff
	v_cndmask_b32_e64 v10, v18, v10, s0
	s_mul_i32 s0, s9, 0xfffffc58
	v_lshl_or_b32 v18, v25, 16, v23
	v_lshlrev_b32_e32 v21, v22, v14
	s_wait_alu 0xfffe
	s_sub_co_i32 s3, s0, s8
	v_and_b32_e32 v15, 7, v10
	v_lshrrev_b32_e32 v10, 2, v10
	s_wait_dscnt 0x0
	v_lshrrev_b32_e32 v22, 16, v1
	v_cmp_ne_u32_e64 s2, v21, v24
	v_add_nc_u32_e32 v23, 0xfffffc10, v29
	v_cmp_lt_i32_e64 s0, 5, v15
	v_cmp_eq_u32_e64 s1, 3, v15
	v_mul_f16_e32 v21, v78, v22
	s_wait_alu 0xf1ff
	v_cndmask_b32_e64 v15, 0, 1, s2
	s_wait_alu 0xfffe
	v_add_nc_u32_e32 v13, s3, v13
	s_or_b32 s0, s1, s0
	v_fmac_f16_e32 v21, v76, v1
	s_wait_alu 0xfffe
	v_add_co_ci_u32_e64 v10, s0, 0, v10, s0
	v_cmp_ne_u32_e64 s0, 0, v20
	v_or_b32_e32 v14, v14, v15
	v_lshl_or_b32 v15, v23, 12, v16
	v_and_or_b32 v3, 0x1ff, v4, v3
	v_mul_f64_e32 v[8:9], s[6:7], v[8:9]
	s_wait_alu 0xf1ff
	v_cndmask_b32_e64 v20, 0, 1, s0
	v_cmp_gt_i32_e64 s0, 1, v23
	v_cvt_f32_f16_e32 v21, v21
	v_bfe_u32 v25, v4, 20, 11
	v_mul_f16_e32 v1, v78, v1
	v_lshl_or_b32 v20, v20, 9, 0x7c00
	s_wait_alu 0xf1ff
	v_cndmask_b32_e64 v24, v15, v14, s0
	v_cmp_ne_u32_e64 s0, 0, v3
	v_cvt_f64_f32_e32 v[14:15], v21
	v_lshrrev_b32_e32 v21, 8, v4
	v_fma_f16 v1, v76, v22, -v1
	v_and_b32_e32 v26, 7, v24
	s_wait_alu 0xf1ff
	v_cndmask_b32_e64 v3, 0, 1, s0
	v_cmp_gt_i32_e64 s0, 31, v19
	global_store_b32 v[12:13], v18, off
	v_cvt_f32_f16_e32 v1, v1
	v_cmp_eq_u32_e64 s1, 3, v26
	v_and_or_b32 v3, 0xffe, v21, v3
	s_wait_alu 0xf1ff
	v_cndmask_b32_e64 v10, 0x7c00, v10, s0
	v_sub_nc_u32_e32 v21, 0x3f1, v25
	v_cmp_eq_u32_e64 s0, 0x40f, v19
	v_lshrrev_b32_e32 v4, 16, v4
	v_or_b32_e32 v19, 0x1000, v3
	s_wait_alu 0xf1ff
	s_delay_alu instid0(VALU_DEP_3) | instskip(SKIP_3) | instid1(VALU_DEP_4)
	v_cndmask_b32_e64 v10, v10, v20, s0
	v_med3_i32 v20, v21, 0, 13
	v_cmp_lt_i32_e64 s0, 5, v26
	v_lshrrev_b32_e32 v21, 2, v24
	v_and_or_b32 v22, 0x8000, v11, v10
	s_delay_alu instid0(VALU_DEP_4) | instskip(NEXT) | instid1(VALU_DEP_4)
	v_lshrrev_b32_e32 v24, v20, v19
	s_or_b32 s0, s1, s0
	v_cvt_f64_f32_e32 v[10:11], v1
	s_wait_alu 0xfffe
	v_add_co_ci_u32_e64 v21, s0, 0, v21, s0
	v_lshlrev_b32_e32 v20, v20, v24
	v_cmp_gt_i32_e64 s0, 31, v23
	v_and_or_b32 v8, 0x1ff, v9, v8
	s_wait_alu 0xf1ff
	s_delay_alu instid0(VALU_DEP_2)
	v_cndmask_b32_e64 v21, 0x7c00, v21, s0
	v_cmp_ne_u32_e64 s0, v20, v19
	v_add_nc_u32_e32 v20, 0xfffffc10, v25
	v_bfe_u32 v25, v9, 20, 11
	v_mul_f64_e32 v[14:15], s[6:7], v[14:15]
	s_wait_alu 0xf1ff
	v_cndmask_b32_e64 v19, 0, 1, s0
	v_cmp_ne_u32_e64 s0, 0, v16
	s_delay_alu instid0(VALU_DEP_2) | instskip(SKIP_1) | instid1(VALU_DEP_2)
	v_or_b32_e32 v16, v24, v19
	s_wait_alu 0xf1ff
	v_cndmask_b32_e64 v1, 0, 1, s0
	v_cmp_ne_u32_e64 s0, 0, v8
	v_lshl_or_b32 v19, v20, 12, v3
	v_lshrrev_b32_e32 v24, 8, v9
	s_delay_alu instid0(VALU_DEP_4) | instskip(SKIP_3) | instid1(VALU_DEP_2)
	v_lshl_or_b32 v1, v1, 9, 0x7c00
	s_wait_alu 0xf1ff
	v_cndmask_b32_e64 v8, 0, 1, s0
	v_cmp_gt_i32_e64 s0, 1, v20
	v_and_or_b32 v8, 0xffe, v24, v8
	s_wait_alu 0xf1ff
	s_delay_alu instid0(VALU_DEP_2) | instskip(SKIP_2) | instid1(VALU_DEP_3)
	v_cndmask_b32_e64 v16, v19, v16, s0
	v_sub_nc_u32_e32 v19, 0x3f1, v25
	v_cmp_eq_u32_e64 s0, 0x40f, v23
	v_and_b32_e32 v23, 7, v16
	s_delay_alu instid0(VALU_DEP_3) | instskip(SKIP_1) | instid1(VALU_DEP_3)
	v_med3_i32 v19, v19, 0, 13
	s_wait_alu 0xf1ff
	v_cndmask_b32_e64 v1, v21, v1, s0
	v_or_b32_e32 v21, 0x1000, v8
	v_lshrrev_b32_e32 v16, 2, v16
	v_cmp_lt_i32_e64 s0, 5, v23
	v_cmp_eq_u32_e64 s1, 3, v23
	v_and_or_b32 v1, 0x8000, v17, v1
	v_and_b32_e32 v17, 0xffff, v22
	v_lshrrev_b32_e32 v22, v19, v21
	v_mul_f64_e32 v[10:11], s[6:7], v[10:11]
	s_or_b32 s0, s1, s0
	s_wait_alu 0xfffe
	v_add_co_ci_u32_e64 v16, s0, 0, v16, s0
	v_lshlrev_b32_e32 v18, v19, v22
	v_lshl_or_b32 v1, v1, 16, v17
	v_and_or_b32 v14, 0x1ff, v15, v14
	v_bfe_u32 v23, v15, 20, 11
	s_delay_alu instid0(VALU_DEP_4) | instskip(SKIP_3) | instid1(VALU_DEP_3)
	v_cmp_ne_u32_e64 s0, v18, v21
	v_add_nc_u32_e32 v18, 0xfffffc10, v25
	v_lshrrev_b32_e32 v21, 16, v5
	s_wait_alu 0xf1ff
	v_cndmask_b32_e64 v17, 0, 1, s0
	v_cmp_gt_i32_e64 s0, 31, v20
	v_lshl_or_b32 v19, v18, 12, v8
	s_delay_alu instid0(VALU_DEP_3) | instskip(SKIP_1) | instid1(VALU_DEP_3)
	v_or_b32_e32 v17, v22, v17
	s_wait_alu 0xf1ff
	v_cndmask_b32_e64 v16, 0x7c00, v16, s0
	v_cmp_ne_u32_e64 s0, 0, v3
	v_lshrrev_b32_e32 v22, 8, v15
	v_lshrrev_b32_e32 v15, 16, v15
	s_wait_alu 0xf1ff
	s_delay_alu instid0(VALU_DEP_3) | instskip(SKIP_1) | instid1(VALU_DEP_2)
	v_cndmask_b32_e64 v3, 0, 1, s0
	v_cmp_gt_i32_e64 s0, 1, v18
	v_lshl_or_b32 v3, v3, 9, 0x7c00
	s_wait_alu 0xf1ff
	s_delay_alu instid0(VALU_DEP_2) | instskip(SKIP_2) | instid1(VALU_DEP_3)
	v_cndmask_b32_e64 v19, v19, v17, s0
	v_cmp_ne_u32_e64 s0, 0, v14
	v_mul_f16_e32 v17, v77, v21
	v_and_b32_e32 v24, 7, v19
	s_wait_alu 0xf1ff
	s_delay_alu instid0(VALU_DEP_3) | instskip(NEXT) | instid1(VALU_DEP_3)
	v_cndmask_b32_e64 v14, 0, 1, s0
	v_fmac_f16_e32 v17, v74, v5
	v_cmp_eq_u32_e64 s0, 0x40f, v20
	v_lshrrev_b32_e32 v19, 2, v19
	v_cmp_eq_u32_e64 s1, 3, v24
	v_and_or_b32 v14, 0xffe, v22, v14
	v_sub_nc_u32_e32 v22, 0x3f1, v23
	s_wait_alu 0xf1ff
	v_cndmask_b32_e64 v3, v16, v3, s0
	v_cvt_f32_f16_e32 v16, v17
	v_cmp_lt_i32_e64 s0, 5, v24
	v_or_b32_e32 v20, 0x1000, v14
	v_med3_i32 v22, v22, 0, 13
	v_and_or_b32 v10, 0x1ff, v11, v10
	v_cvt_f64_f32_e32 v[16:17], v16
	s_or_b32 s0, s1, s0
	v_mul_f16_e32 v5, v77, v5
	s_wait_alu 0xfffe
	v_add_co_ci_u32_e64 v19, s0, 0, v19, s0
	v_lshrrev_b32_e32 v24, v22, v20
	v_cmp_ne_u32_e64 s0, 0, v8
	v_bfe_u32 v25, v11, 20, 11
	v_fma_f16 v5, v74, v21, -v5
	s_delay_alu instid0(VALU_DEP_4) | instskip(SKIP_4) | instid1(VALU_DEP_3)
	v_lshlrev_b32_e32 v22, v22, v24
	s_wait_alu 0xf1ff
	v_cndmask_b32_e64 v8, 0, 1, s0
	v_cmp_gt_i32_e64 s0, 31, v18
	v_cvt_f32_f16_e32 v5, v5
	v_lshl_or_b32 v8, v8, 9, 0x7c00
	s_wait_alu 0xf1ff
	s_delay_alu instid0(VALU_DEP_3) | instskip(SKIP_4) | instid1(VALU_DEP_3)
	v_cndmask_b32_e64 v19, 0x7c00, v19, s0
	v_cmp_ne_u32_e64 s0, v22, v20
	v_add_nc_u32_e32 v22, 0xfffffc10, v23
	v_lshrrev_b32_e32 v23, 8, v11
	s_wait_alu 0xf1ff
	v_cndmask_b32_e64 v20, 0, 1, s0
	v_cmp_ne_u32_e64 s0, 0, v10
	s_delay_alu instid0(VALU_DEP_2) | instskip(SKIP_1) | instid1(VALU_DEP_2)
	v_or_b32_e32 v20, v24, v20
	s_wait_alu 0xf1ff
	v_cndmask_b32_e64 v10, 0, 1, s0
	v_lshl_or_b32 v24, v22, 12, v14
	v_cmp_gt_i32_e64 s0, 1, v22
	s_delay_alu instid0(VALU_DEP_3) | instskip(SKIP_2) | instid1(VALU_DEP_3)
	v_and_or_b32 v10, 0xffe, v23, v10
	v_sub_nc_u32_e32 v23, 0x3f1, v25
	s_wait_alu 0xf1ff
	v_cndmask_b32_e64 v20, v24, v20, s0
	v_cmp_eq_u32_e64 s0, 0x40f, v18
	v_mul_f64_e32 v[16:17], s[6:7], v[16:17]
	v_or_b32_e32 v21, 0x1000, v10
	v_med3_i32 v23, v23, 0, 13
	v_and_b32_e32 v24, 7, v20
	s_wait_alu 0xf1ff
	v_cndmask_b32_e64 v18, v19, v8, s0
	v_lshrrev_b32_e32 v19, 16, v9
	v_cvt_f64_f32_e32 v[8:9], v5
	v_lshrrev_b32_e32 v26, v23, v21
	v_add_co_u32 v12, s0, v12, s4
	s_wait_alu 0xf1ff
	v_add_co_ci_u32_e64 v13, s0, s5, v13, s0
	s_delay_alu instid0(VALU_DEP_3)
	v_lshlrev_b32_e32 v5, v23, v26
	v_cmp_lt_i32_e64 s0, 5, v24
	v_cmp_eq_u32_e64 s1, 3, v24
	v_lshrrev_b32_e32 v20, 2, v20
	v_and_or_b32 v23, 0x8000, v4, v3
	v_cmp_ne_u32_e64 s2, v5, v21
	ds_load_2addr_b32 v[3:4], v6 offset0:172 offset1:226
	s_or_b32 s0, s1, s0
	v_and_or_b32 v18, 0x8000, v19, v18
	s_wait_alu 0xfffe
	v_add_co_ci_u32_e64 v20, s0, 0, v20, s0
	v_cndmask_b32_e64 v5, 0, 1, s2
	v_add_nc_u32_e32 v19, 0xfffffc10, v25
	v_cmp_ne_u32_e64 s0, 0, v14
	v_and_b32_e32 v6, 0xffff, v23
	global_store_b32 v[12:13], v1, off
	v_or_b32_e32 v5, v26, v5
	v_lshl_or_b32 v21, v19, 12, v10
	s_wait_alu 0xf1ff
	v_cndmask_b32_e64 v14, 0, 1, s0
	v_cmp_gt_i32_e64 s0, 1, v19
	s_movk_i32 s2, 0xfdf6
	s_mov_b32 s3, -1
	s_delay_alu instid0(VALU_DEP_2)
	v_lshl_or_b32 v14, v14, 9, 0x7c00
	s_wait_alu 0xf1ff
	v_cndmask_b32_e64 v5, v21, v5, s0
	v_cmp_gt_i32_e64 s0, 31, v22
	v_lshl_or_b32 v21, v18, 16, v6
	s_wait_dscnt 0x0
	v_lshrrev_b32_e32 v18, 16, v3
	v_and_b32_e32 v1, 7, v5
	s_wait_alu 0xf1ff
	v_cndmask_b32_e64 v20, 0x7c00, v20, s0
	v_cmp_eq_u32_e64 s0, 0x40f, v22
	s_delay_alu instid0(VALU_DEP_3) | instskip(SKIP_1) | instid1(VALU_DEP_2)
	v_cmp_eq_u32_e64 s1, 3, v1
	s_wait_alu 0xf1ff
	v_cndmask_b32_e64 v14, v20, v14, s0
	v_cmp_lt_i32_e64 s0, 5, v1
	v_lshrrev_b32_e32 v1, 2, v5
	v_mul_f64_e32 v[5:6], s[6:7], v[8:9]
	v_mul_f16_e32 v8, v75, v18
	v_and_or_b32 v9, 0x1ff, v17, v16
	s_or_b32 s0, s1, s0
	v_lshrrev_b32_e32 v16, 8, v17
	s_wait_alu 0xfffe
	v_add_co_ci_u32_e64 v1, s0, 0, v1, s0
	v_fmac_f16_e32 v8, v73, v3
	v_cmp_ne_u32_e64 s0, 0, v9
	v_bfe_u32 v20, v17, 20, 11
	v_mul_f16_e32 v3, v75, v3
	v_and_or_b32 v14, 0x8000, v15, v14
	v_cvt_f32_f16_e32 v8, v8
	s_wait_alu 0xf1ff
	v_cndmask_b32_e64 v9, 0, 1, s0
	v_cmp_ne_u32_e64 s0, 0, v10
	v_sub_nc_u32_e32 v22, 0x3f1, v20
	v_fma_f16 v3, v73, v18, -v3
	v_add_nc_u32_e32 v20, 0xfffffc10, v20
	v_and_or_b32 v16, 0xffe, v16, v9
	v_cvt_f64_f32_e32 v[8:9], v8
	s_wait_alu 0xf1ff
	v_cndmask_b32_e64 v10, 0, 1, s0
	v_cmp_gt_i32_e64 s0, 31, v19
	v_med3_i32 v22, v22, 0, 13
	v_or_b32_e32 v23, 0x1000, v16
	v_cvt_f32_f16_e32 v3, v3
	v_lshl_or_b32 v10, v10, 9, 0x7c00
	s_wait_alu 0xf1ff
	v_cndmask_b32_e64 v1, 0x7c00, v1, s0
	v_cmp_eq_u32_e64 s0, 0x40f, v19
	v_lshrrev_b32_e32 v24, v22, v23
	v_lshrrev_b32_e32 v19, 16, v11
	v_and_b32_e32 v14, 0xffff, v14
	v_lshrrev_b32_e32 v17, 16, v17
	s_wait_alu 0xf1ff
	v_cndmask_b32_e64 v1, v1, v10, s0
	v_add_co_u32 v10, s0, v12, s4
	v_lshlrev_b32_e32 v12, v22, v24
	s_wait_alu 0xf1ff
	v_add_co_ci_u32_e64 v11, s0, s5, v13, s0
	v_and_or_b32 v5, 0x1ff, v6, v5
	v_bfe_u32 v18, v6, 20, 11
	v_cmp_ne_u32_e64 s0, v12, v23
	v_cvt_f64_f32_e32 v[12:13], v3
	v_and_or_b32 v1, 0x8000, v19, v1
	v_lshl_or_b32 v19, v20, 12, v16
	s_wait_alu 0xf1ff
	v_cndmask_b32_e64 v15, 0, 1, s0
	v_cmp_ne_u32_e64 s0, 0, v5
	v_lshrrev_b32_e32 v5, 8, v6
	v_lshl_or_b32 v23, v1, 16, v14
	v_lshrrev_b32_e32 v6, 16, v6
	v_or_b32_e32 v15, v24, v15
	s_wait_alu 0xf1ff
	v_cndmask_b32_e64 v3, 0, 1, s0
	v_cmp_gt_i32_e64 s0, 1, v20
	s_delay_alu instid0(VALU_DEP_2)
	v_and_or_b32 v3, 0xffe, v5, v3
	v_sub_nc_u32_e32 v5, 0x3f1, v18
	v_mul_f64_e32 v[8:9], s[6:7], v[8:9]
	s_wait_alu 0xf1ff
	v_cndmask_b32_e64 v19, v19, v15, s0
	s_mul_u64 s[0:1], s[8:9], s[2:3]
	v_or_b32_e32 v22, 0x1000, v3
	v_med3_i32 v5, v5, 0, 13
	s_wait_alu 0xfffe
	s_lshl_b64 s[8:9], s[0:1], 2
	v_and_b32_e32 v1, 7, v19
	s_wait_alu 0xfffe
	v_add_co_u32 v14, s0, v10, s8
	v_lshrrev_b32_e32 v24, v5, v22
	s_wait_alu 0xf1ff
	v_add_co_ci_u32_e64 v15, s0, s9, v11, s0
	v_cmp_lt_i32_e64 s0, 5, v1
	v_cmp_eq_u32_e64 s1, 3, v1
	v_lshlrev_b32_e32 v5, v5, v24
	v_lshrrev_b32_e32 v19, 2, v19
	v_lshrrev_b32_e32 v1, 16, v2
	s_delay_alu instid0(VALU_DEP_4) | instskip(NEXT) | instid1(VALU_DEP_3)
	s_or_b32 s0, s1, s0
	v_cmp_ne_u32_e64 s2, v5, v22
	s_wait_alu 0xfffe
	v_add_co_ci_u32_e64 v19, s0, 0, v19, s0
	v_add_nc_u32_e32 v22, 0xfffffc10, v18
	v_mul_f16_e32 v18, v72, v1
	s_wait_alu 0xf1ff
	v_cndmask_b32_e64 v5, 0, 1, s2
	v_cmp_ne_u32_e64 s0, 0, v16
	v_mul_f64_e32 v[12:13], s[6:7], v[12:13]
	v_fmac_f16_e32 v18, v70, v2
	s_delay_alu instid0(VALU_DEP_4)
	v_or_b32_e32 v5, v24, v5
	v_lshl_or_b32 v24, v22, 12, v3
	s_wait_alu 0xf1ff
	v_cndmask_b32_e64 v16, 0, 1, s0
	v_cmp_gt_i32_e64 s0, 1, v22
	v_cvt_f32_f16_e32 v18, v18
	v_mul_f16_e32 v2, v72, v2
	s_delay_alu instid0(VALU_DEP_4)
	v_lshl_or_b32 v16, v16, 9, 0x7c00
	s_wait_alu 0xf1ff
	v_cndmask_b32_e64 v5, v24, v5, s0
	v_cmp_gt_i32_e64 s0, 31, v20
	v_and_or_b32 v8, 0x1ff, v9, v8
	v_fma_f16 v1, v70, v1, -v2
	s_delay_alu instid0(VALU_DEP_4)
	v_and_b32_e32 v25, 7, v5
	s_wait_alu 0xf1ff
	v_cndmask_b32_e64 v24, 0x7c00, v19, s0
	v_cvt_f64_f32_e32 v[18:19], v18
	v_cmp_eq_u32_e64 s0, 0x40f, v20
	v_cmp_ne_u32_e64 s1, 0, v8
	v_lshrrev_b32_e32 v5, 2, v5
	v_lshrrev_b32_e32 v20, 8, v9
	v_cvt_f32_f16_e32 v1, v1
	s_wait_alu 0xf1ff
	v_cndmask_b32_e64 v16, v24, v16, s0
	v_cmp_lt_i32_e64 s0, 5, v25
	v_cndmask_b32_e64 v8, 0, 1, s1
	v_cmp_eq_u32_e64 s1, 3, v25
	v_bfe_u32 v24, v9, 20, 11
	v_and_or_b32 v25, 0x8000, v17, v16
	v_cvt_f64_f32_e32 v[16:17], v1
	v_and_or_b32 v20, 0xffe, v20, v8
	s_or_b32 s0, s1, s0
	v_sub_nc_u32_e32 v8, 0x3f1, v24
	s_wait_alu 0xfffe
	v_add_co_ci_u32_e64 v5, s0, 0, v5, s0
	v_cmp_ne_u32_e64 s0, 0, v3
	v_or_b32_e32 v26, 0x1000, v20
	v_med3_i32 v8, v8, 0, 13
	v_and_or_b32 v2, 0x1ff, v13, v12
	v_lshrrev_b32_e32 v12, 8, v13
	s_wait_alu 0xf1ff
	v_cndmask_b32_e64 v3, 0, 1, s0
	v_cmp_gt_i32_e64 s0, 31, v22
	v_lshrrev_b32_e32 v29, v8, v26
	v_add_nc_u32_e32 v24, 0xfffffc10, v24
	s_delay_alu instid0(VALU_DEP_4)
	v_lshl_or_b32 v3, v3, 9, 0x7c00
	s_wait_alu 0xf1ff
	v_cndmask_b32_e64 v5, 0x7c00, v5, s0
	v_cmp_eq_u32_e64 s0, 0x40f, v22
	v_bfe_u32 v22, v13, 20, 11
	v_cmp_eq_u32_e64 s2, 0x40f, v24
	v_lshrrev_b32_e32 v13, 16, v13
	s_wait_alu 0xf1ff
	v_cndmask_b32_e64 v3, v5, v3, s0
	v_cmp_ne_u32_e64 s0, 0, v2
	v_lshlrev_b32_e32 v5, v8, v29
	v_mul_f64_e32 v[18:19], s[6:7], v[18:19]
	ds_load_2addr_b32 v[1:2], v7 offset0:194 offset1:248
	v_sub_nc_u32_e32 v7, 0x3f1, v22
	s_wait_alu 0xf1ff
	v_cndmask_b32_e64 v8, 0, 1, s0
	v_cmp_ne_u32_e64 s0, v5, v26
	v_and_or_b32 v3, 0x8000, v6, v3
	v_and_b32_e32 v6, 0xffff, v25
	v_med3_i32 v7, v7, 0, 13
	v_and_or_b32 v26, 0xffe, v12, v8
	s_wait_alu 0xf1ff
	v_cndmask_b32_e64 v5, 0, 1, s0
	v_lshl_or_b32 v8, v24, 12, v20
	v_cmp_gt_i32_e64 s0, 1, v24
	global_store_b32 v[10:11], v21, off
	global_store_b32 v[14:15], v23, off
	v_or_b32_e32 v12, 0x1000, v26
	v_or_b32_e32 v5, v29, v5
	v_lshl_or_b32 v3, v3, 16, v6
	s_delay_alu instid0(VALU_DEP_3) | instskip(SKIP_1) | instid1(VALU_DEP_3)
	v_lshrrev_b32_e32 v25, v7, v12
	s_wait_alu 0xf1ff
	v_cndmask_b32_e64 v8, v8, v5, s0
	v_add_co_u32 v5, s0, v14, s4
	s_wait_dscnt 0x0
	v_lshrrev_b32_e32 v21, 16, v1
	v_lshlrev_b32_e32 v7, v7, v25
	v_and_b32_e32 v10, 7, v8
	s_wait_alu 0xf1ff
	v_add_co_ci_u32_e64 v6, s0, s5, v15, s0
	v_mul_f16_e32 v11, v71, v21
	v_cmp_ne_u32_e64 s1, v7, v12
	v_cmp_lt_i32_e64 s0, 5, v10
	v_add_nc_u32_e32 v14, 0xfffffc10, v22
	global_store_b32 v[5:6], v3, off
	v_fmac_f16_e32 v11, v69, v1
	s_wait_alu 0xf1ff
	v_cndmask_b32_e64 v7, 0, 1, s1
	v_cmp_eq_u32_e64 s1, 3, v10
	v_lshrrev_b32_e32 v10, 2, v8
	v_lshl_or_b32 v15, v14, 12, v26
	v_cvt_f32_f16_e32 v11, v11
	v_or_b32_e32 v12, v25, v7
	v_mul_f64_e32 v[7:8], s[6:7], v[16:17]
	s_or_b32 s0, s1, s0
	v_and_or_b32 v16, 0x1ff, v19, v18
	s_wait_alu 0xfffe
	v_add_co_ci_u32_e64 v17, s0, 0, v10, s0
	v_cmp_gt_i32_e64 s0, 1, v14
	v_cvt_f64_f32_e32 v[10:11], v11
	v_bfe_u32 v18, v19, 20, 11
	v_mul_f16_e32 v1, v71, v1
	s_wait_alu 0xf1ff
	v_cndmask_b32_e64 v12, v15, v12, s0
	v_cmp_ne_u32_e64 s0, 0, v16
	v_lshrrev_b32_e32 v16, 8, v19
	v_fma_f16 v1, v69, v21, -v1
	v_lshrrev_b32_e32 v19, 16, v19
	v_and_b32_e32 v22, 7, v12
	s_wait_alu 0xf1ff
	v_cndmask_b32_e64 v15, 0, 1, s0
	v_cmp_ne_u32_e64 s0, 0, v20
	v_lshrrev_b32_e32 v12, 2, v12
	v_cvt_f32_f16_e32 v1, v1
	v_cmp_eq_u32_e64 s1, 3, v22
	v_and_or_b32 v15, 0xffe, v16, v15
	s_wait_alu 0xf1ff
	v_cndmask_b32_e64 v20, 0, 1, s0
	v_sub_nc_u32_e32 v16, 0x3f1, v18
	v_cmp_gt_i32_e64 s0, 31, v24
	v_add_nc_u32_e32 v18, 0xfffffc10, v18
	v_or_b32_e32 v23, 0x1000, v15
	v_lshl_or_b32 v20, v20, 9, 0x7c00
	v_med3_i32 v16, v16, 0, 13
	s_wait_alu 0xf1ff
	v_cndmask_b32_e64 v17, 0x7c00, v17, s0
	v_cmp_lt_i32_e64 s0, 5, v22
	v_lshrrev_b32_e32 v22, 16, v9
	s_delay_alu instid0(VALU_DEP_3) | instskip(SKIP_1) | instid1(VALU_DEP_4)
	v_cndmask_b32_e64 v17, v17, v20, s2
	v_lshrrev_b32_e32 v20, v16, v23
	s_or_b32 s0, s1, s0
	s_wait_alu 0xfffe
	v_add_co_ci_u32_e64 v12, s0, 0, v12, s0
	s_delay_alu instid0(VALU_DEP_2) | instskip(SKIP_4) | instid1(VALU_DEP_3)
	v_lshlrev_b32_e32 v9, v16, v20
	v_cmp_gt_i32_e64 s0, 31, v14
	v_and_or_b32 v7, 0x1ff, v8, v7
	v_bfe_u32 v24, v8, 20, 11
	s_wait_alu 0xf1ff
	v_cndmask_b32_e64 v16, 0x7c00, v12, s0
	v_cmp_ne_u32_e64 s0, v9, v23
	v_lshrrev_b32_e32 v23, 8, v8
	v_mul_f64_e32 v[9:10], s[6:7], v[10:11]
	v_cvt_f64_f32_e32 v[11:12], v1
	s_wait_alu 0xf1ff
	v_cndmask_b32_e64 v21, 0, 1, s0
	v_cmp_ne_u32_e64 s0, 0, v7
	s_delay_alu instid0(VALU_DEP_2) | instskip(SKIP_1) | instid1(VALU_DEP_2)
	v_or_b32_e32 v20, v20, v21
	s_wait_alu 0xf1ff
	v_cndmask_b32_e64 v7, 0, 1, s0
	v_cmp_ne_u32_e64 s0, 0, v26
	v_lshl_or_b32 v21, v18, 12, v15
	s_delay_alu instid0(VALU_DEP_3)
	v_and_or_b32 v7, 0xffe, v23, v7
	v_sub_nc_u32_e32 v23, 0x3f1, v24
	s_wait_alu 0xf1ff
	v_cndmask_b32_e64 v1, 0, 1, s0
	v_cmp_gt_i32_e64 s0, 1, v18
	v_or_b32_e32 v25, 0x1000, v7
	v_med3_i32 v23, v23, 0, 13
	s_delay_alu instid0(VALU_DEP_4)
	v_lshl_or_b32 v1, v1, 9, 0x7c00
	s_wait_alu 0xf1ff
	v_cndmask_b32_e64 v20, v21, v20, s0
	v_cmp_eq_u32_e64 s0, 0x40f, v14
	v_lshrrev_b32_e32 v14, v23, v25
	s_wait_alu 0xf1ff
	s_delay_alu instid0(VALU_DEP_2) | instskip(SKIP_3) | instid1(VALU_DEP_4)
	v_cndmask_b32_e64 v1, v16, v1, s0
	v_and_or_b32 v16, 0x8000, v22, v17
	v_and_b32_e32 v17, 7, v20
	v_lshlrev_b32_e32 v3, v23, v14
	v_and_or_b32 v1, 0x8000, v13, v1
	v_lshrrev_b32_e32 v13, 2, v20
	s_delay_alu instid0(VALU_DEP_4)
	v_cmp_lt_i32_e64 s0, 5, v17
	v_cmp_eq_u32_e64 s1, 3, v17
	v_cmp_ne_u32_e64 s2, v3, v25
	v_add_nc_u32_e32 v17, 0xfffffc10, v24
	v_lshrrev_b32_e32 v20, 16, v4
	v_mul_f64_e32 v[11:12], s[6:7], v[11:12]
	s_or_b32 s0, s1, s0
	v_cndmask_b32_e64 v3, 0, 1, s2
	s_wait_alu 0xfffe
	v_add_co_ci_u32_e64 v13, s0, 0, v13, s0
	v_cmp_ne_u32_e64 s0, 0, v15
	v_and_or_b32 v9, 0x1ff, v10, v9
	v_or_b32_e32 v3, v14, v3
	v_lshl_or_b32 v14, v17, 12, v7
	v_lshrrev_b32_e32 v22, 8, v10
	s_wait_alu 0xf1ff
	v_cndmask_b32_e64 v15, 0, 1, s0
	v_cmp_gt_i32_e64 s0, 1, v17
	v_bfe_u32 v23, v10, 20, 11
	v_cmp_eq_u32_e64 s2, 0x40f, v18
	v_and_b32_e32 v16, 0xffff, v16
	v_lshl_or_b32 v15, v15, 9, 0x7c00
	s_wait_alu 0xf1ff
	v_cndmask_b32_e64 v3, v14, v3, s0
	v_mul_f16_e32 v14, v68, v20
	v_cmp_gt_i32_e64 s0, 31, v18
	v_lshrrev_b32_e32 v10, 16, v10
	s_delay_alu instid0(VALU_DEP_3) | instskip(SKIP_1) | instid1(VALU_DEP_3)
	v_fmac_f16_e32 v14, v67, v4
	s_wait_alu 0xf1ff
	v_cndmask_b32_e64 v21, 0x7c00, v13, s0
	v_and_b32_e32 v13, 7, v3
	v_cmp_ne_u32_e64 s0, 0, v9
	v_lshrrev_b32_e32 v3, 2, v3
	v_cvt_f32_f16_e32 v14, v14
	v_cndmask_b32_e64 v15, v21, v15, s2
	v_cmp_eq_u32_e64 s1, 3, v13
	s_wait_alu 0xf1ff
	v_cndmask_b32_e64 v9, 0, 1, s0
	v_cmp_lt_i32_e64 s0, 5, v13
	v_cvt_f64_f32_e32 v[13:14], v14
	v_mul_f16_e32 v4, v68, v4
	v_and_or_b32 v15, 0x8000, v19, v15
	v_and_or_b32 v9, 0xffe, v22, v9
	s_or_b32 s0, s1, s0
	v_sub_nc_u32_e32 v22, 0x3f1, v23
	s_wait_alu 0xfffe
	v_add_co_ci_u32_e64 v3, s0, 0, v3, s0
	v_cmp_ne_u32_e64 s0, 0, v7
	v_or_b32_e32 v18, 0x1000, v9
	v_med3_i32 v21, v22, 0, 13
	v_and_b32_e32 v15, 0xffff, v15
	s_wait_alu 0xf1ff
	v_cndmask_b32_e64 v7, 0, 1, s0
	v_cmp_gt_i32_e64 s0, 31, v17
	v_lshrrev_b32_e32 v22, v21, v18
	s_delay_alu instid0(VALU_DEP_3) | instskip(SKIP_1) | instid1(VALU_DEP_3)
	v_lshl_or_b32 v7, v7, 9, 0x7c00
	s_wait_alu 0xf1ff
	v_cndmask_b32_e64 v3, 0x7c00, v3, s0
	v_cmp_eq_u32_e64 s0, 0x40f, v17
	v_lshlrev_b32_e32 v19, v21, v22
	s_wait_alu 0xf1ff
	s_delay_alu instid0(VALU_DEP_2)
	v_cndmask_b32_e64 v17, v3, v7, s0
	v_fma_f16 v3, v67, v20, -v4
	v_and_or_b32 v4, 0x1ff, v12, v11
	v_cmp_ne_u32_e64 s0, v19, v18
	v_add_nc_u32_e32 v11, 0xfffffc10, v23
	v_lshrrev_b32_e32 v19, 8, v12
	v_cvt_f32_f16_e32 v3, v3
	v_bfe_u32 v20, v12, 20, 11
	s_wait_alu 0xf1ff
	v_cndmask_b32_e64 v7, 0, 1, s0
	v_cmp_ne_u32_e64 s0, 0, v4
	v_lshl_or_b32 v21, v11, 12, v9
	v_cvt_f64_f32_e32 v[3:4], v3
	v_lshrrev_b32_e32 v23, 16, v0
	v_or_b32_e32 v7, v22, v7
	s_wait_alu 0xf1ff
	v_cndmask_b32_e64 v18, 0, 1, s0
	v_cmp_gt_i32_e64 s0, 1, v11
	v_lshrrev_b32_e32 v22, 16, v8
	v_lshrrev_b32_e32 v12, 16, v12
	s_delay_alu instid0(VALU_DEP_4)
	v_and_or_b32 v18, 0xffe, v19, v18
	v_sub_nc_u32_e32 v19, 0x3f1, v20
	s_wait_alu 0xf1ff
	v_cndmask_b32_e64 v21, v21, v7, s0
	v_mul_f64_e32 v[7:8], s[6:7], v[13:14]
	v_add_co_u32 v5, s0, v5, s4
	v_or_b32_e32 v13, 0x1000, v18
	v_med3_i32 v14, v19, 0, 13
	v_lshl_or_b32 v19, v1, 16, v16
	v_and_or_b32 v1, 0x8000, v22, v17
	v_and_b32_e32 v16, 7, v21
	s_wait_alu 0xf1ff
	v_add_co_ci_u32_e64 v6, s0, s5, v6, s0
	v_lshrrev_b32_e32 v17, v14, v13
	v_lshl_or_b32 v22, v1, 16, v15
	v_cmp_lt_i32_e64 s0, 5, v16
	v_cmp_eq_u32_e64 s1, 3, v16
	v_add_nc_u32_e32 v20, 0xfffffc10, v20
	v_lshlrev_b32_e32 v1, v14, v17
	v_lshrrev_b32_e32 v14, 2, v21
	s_delay_alu instid0(VALU_DEP_4) | instskip(NEXT) | instid1(VALU_DEP_3)
	s_or_b32 s0, s1, s0
	v_lshl_or_b32 v15, v20, 12, v18
	s_delay_alu instid0(VALU_DEP_3)
	v_cmp_ne_u32_e64 s2, v1, v13
	s_wait_alu 0xfffe
	v_add_co_ci_u32_e64 v14, s0, 0, v14, s0
	v_mul_f16_e32 v13, v66, v23
	v_cmp_ne_u32_e64 s0, 0, v9
	s_wait_alu 0xf1ff
	v_cndmask_b32_e64 v1, 0, 1, s2
	v_mul_f64_e32 v[3:4], s[6:7], v[3:4]
	v_fmac_f16_e32 v13, v65, v0
	v_cndmask_b32_e64 v9, 0, 1, s0
	s_delay_alu instid0(VALU_DEP_4) | instskip(SKIP_1) | instid1(VALU_DEP_4)
	v_or_b32_e32 v1, v17, v1
	v_cmp_gt_i32_e64 s0, 1, v20
	v_cvt_f32_f16_e32 v13, v13
	s_delay_alu instid0(VALU_DEP_4) | instskip(SKIP_1) | instid1(VALU_DEP_3)
	v_lshl_or_b32 v9, v9, 9, 0x7c00
	s_wait_alu 0xf1ff
	v_cndmask_b32_e64 v1, v15, v1, s0
	v_cmp_gt_i32_e64 s0, 31, v11
	v_and_or_b32 v7, 0x1ff, v8, v7
	s_delay_alu instid0(VALU_DEP_3) | instskip(SKIP_1) | instid1(VALU_DEP_3)
	v_and_b32_e32 v21, 7, v1
	s_wait_alu 0xf1ff
	v_cndmask_b32_e64 v17, 0x7c00, v14, s0
	v_cvt_f64_f32_e32 v[13:14], v13
	v_add_co_u32 v15, s0, v5, s8
	s_wait_alu 0xf1ff
	v_add_co_ci_u32_e64 v16, s0, s9, v6, s0
	v_cmp_eq_u32_e64 s0, 0x40f, v11
	v_cmp_ne_u32_e64 s1, 0, v7
	v_lshrrev_b32_e32 v1, 2, v1
	v_lshrrev_b32_e32 v11, 8, v8
	global_store_b32 v[5:6], v19, off
	global_store_b32 v[15:16], v22, off
	s_wait_alu 0xf1ff
	v_cndmask_b32_e64 v9, v17, v9, s0
	v_cmp_lt_i32_e64 s0, 5, v21
	v_cndmask_b32_e64 v7, 0, 1, s1
	v_cmp_eq_u32_e64 s1, 3, v21
	v_bfe_u32 v17, v8, 20, 11
	v_and_or_b32 v24, 0x8000, v10, v9
	v_lshrrev_b32_e32 v8, 16, v8
	v_and_or_b32 v7, 0xffe, v11, v7
	s_or_b32 s0, s1, s0
	v_sub_nc_u32_e32 v11, 0x3f1, v17
	s_wait_alu 0xfffe
	v_add_co_ci_u32_e64 v1, s0, 0, v1, s0
	v_cmp_ne_u32_e64 s0, 0, v18
	v_or_b32_e32 v21, 0x1000, v7
	v_med3_i32 v11, v11, 0, 13
	v_and_or_b32 v3, 0x1ff, v4, v3
	v_bfe_u32 v25, v4, 20, 11
	s_wait_alu 0xf1ff
	v_cndmask_b32_e64 v18, 0, 1, s0
	v_cmp_gt_i32_e64 s0, 31, v20
	v_lshrrev_b32_e32 v9, v11, v21
	s_delay_alu instid0(VALU_DEP_3) | instskip(SKIP_1) | instid1(VALU_DEP_3)
	v_lshl_or_b32 v18, v18, 9, 0x7c00
	s_wait_alu 0xf1ff
	v_cndmask_b32_e64 v1, 0x7c00, v1, s0
	v_cmp_eq_u32_e64 s0, 0x40f, v20
	v_lshlrev_b32_e32 v10, v11, v9
	v_mul_f16_e32 v11, v66, v0
	v_lshrrev_b32_e32 v20, 8, v4
	v_lshrrev_b32_e32 v4, 16, v4
	s_wait_alu 0xf1ff
	v_cndmask_b32_e64 v18, v1, v18, s0
	v_cmp_ne_u32_e64 s0, 0, v3
	v_mul_f64_e32 v[0:1], s[6:7], v[13:14]
	v_fma_f16 v11, v65, v23, -v11
	v_sub_nc_u32_e32 v14, 0x3f1, v25
	v_add_nc_u32_e32 v13, 0xfffffc10, v17
	s_wait_alu 0xf1ff
	v_cndmask_b32_e64 v3, 0, 1, s0
	v_cmp_ne_u32_e64 s0, v10, v21
	v_cvt_f32_f16_e32 v11, v11
	v_med3_i32 v14, v14, 0, 13
	v_cmp_eq_u32_e64 s2, 0x40f, v13
	v_and_or_b32 v3, 0xffe, v20, v3
	s_wait_alu 0xf1ff
	v_cndmask_b32_e64 v10, 0, 1, s0
	v_lshl_or_b32 v20, v13, 12, v7
	v_cmp_gt_i32_e64 s0, 1, v13
	v_or_b32_e32 v21, 0x1000, v3
	s_delay_alu instid0(VALU_DEP_4)
	v_or_b32_e32 v17, v9, v10
	v_cvt_f64_f32_e32 v[9:10], v11
	v_and_or_b32 v11, 0x8000, v12, v18
	v_and_b32_e32 v12, 0xffff, v24
	v_lshrrev_b32_e32 v18, v14, v21
	s_wait_alu 0xf1ff
	v_cndmask_b32_e64 v17, v20, v17, s0
	v_add_co_u32 v5, s0, v15, s4
	v_lshl_or_b32 v19, v11, 16, v12
	v_lshlrev_b32_e32 v12, v14, v18
	s_delay_alu instid0(VALU_DEP_4)
	v_and_b32_e32 v11, 7, v17
	v_lshrrev_b32_e32 v14, 16, v2
	s_wait_alu 0xf1ff
	v_add_co_ci_u32_e64 v6, s0, s5, v16, s0
	v_cmp_ne_u32_e64 s1, v12, v21
	v_cmp_lt_i32_e64 s0, 5, v11
	v_add_nc_u32_e32 v15, 0xfffffc10, v25
	v_mul_f16_e32 v16, v64, v14
	s_wait_alu 0xf1ff
	v_cndmask_b32_e64 v12, 0, 1, s1
	v_cmp_eq_u32_e64 s1, 3, v11
	v_lshrrev_b32_e32 v11, 2, v17
	v_lshl_or_b32 v17, v15, 12, v3
	v_fmac_f16_e32 v16, v62, v2
	v_or_b32_e32 v12, v18, v12
	s_or_b32 s0, s1, s0
	v_and_or_b32 v0, 0x1ff, v1, v0
	s_wait_alu 0xfffe
	v_add_co_ci_u32_e64 v18, s0, 0, v11, s0
	v_cmp_gt_i32_e64 s0, 1, v15
	v_cvt_f32_f16_e32 v11, v16
	v_bfe_u32 v20, v1, 20, 11
	s_wait_alu 0xf1ff
	s_delay_alu instid0(VALU_DEP_3)
	v_cndmask_b32_e64 v16, v17, v12, s0
	v_cmp_ne_u32_e64 s0, 0, v0
	v_lshrrev_b32_e32 v17, 8, v1
	v_cvt_f64_f32_e32 v[11:12], v11
	v_lshrrev_b32_e32 v1, 16, v1
	v_mul_f64_e32 v[9:10], s[6:7], v[9:10]
	s_wait_alu 0xf1ff
	v_cndmask_b32_e64 v0, 0, 1, s0
	v_cmp_ne_u32_e64 s0, 0, v7
	v_and_b32_e32 v21, 7, v16
	v_lshrrev_b32_e32 v16, 2, v16
	s_delay_alu instid0(VALU_DEP_4)
	v_and_or_b32 v0, 0xffe, v17, v0
	s_wait_alu 0xf1ff
	v_cndmask_b32_e64 v7, 0, 1, s0
	v_cmp_gt_i32_e64 s0, 31, v13
	v_sub_nc_u32_e32 v17, 0x3f1, v20
	v_cmp_eq_u32_e64 s1, 3, v21
	v_or_b32_e32 v22, 0x1000, v0
	v_lshl_or_b32 v7, v7, 9, 0x7c00
	s_wait_alu 0xf1ff
	v_cndmask_b32_e64 v18, 0x7c00, v18, s0
	v_cmp_lt_i32_e64 s0, 5, v21
	v_med3_i32 v17, v17, 0, 13
	s_delay_alu instid0(VALU_DEP_3) | instskip(NEXT) | instid1(VALU_DEP_3)
	v_cndmask_b32_e64 v7, v18, v7, s2
	s_or_b32 s0, s1, s0
	s_delay_alu instid0(VALU_DEP_2)
	v_lshrrev_b32_e32 v13, v17, v22
	s_wait_alu 0xfffe
	v_add_co_ci_u32_e64 v16, s0, 0, v16, s0
	v_cmp_ne_u32_e64 s0, 0, v3
	v_and_or_b32 v18, 0x8000, v8, v7
	v_lshlrev_b32_e32 v17, v17, v13
	s_wait_alu 0xf1ff
	s_delay_alu instid0(VALU_DEP_3) | instskip(SKIP_2) | instid1(VALU_DEP_3)
	v_cndmask_b32_e64 v3, 0, 1, s0
	v_cmp_gt_i32_e64 s0, 31, v15
	v_and_b32_e32 v18, 0xffff, v18
	v_lshl_or_b32 v3, v3, 9, 0x7c00
	s_wait_alu 0xf1ff
	s_delay_alu instid0(VALU_DEP_3) | instskip(SKIP_3) | instid1(VALU_DEP_2)
	v_cndmask_b32_e64 v16, 0x7c00, v16, s0
	v_cmp_ne_u32_e64 s0, v17, v22
	v_and_or_b32 v9, 0x1ff, v10, v9
	s_wait_alu 0xf1ff
	v_cndmask_b32_e64 v7, 0, 1, s0
	v_cmp_eq_u32_e64 s0, 0x40f, v15
	v_add_nc_u32_e32 v15, 0xfffffc10, v20
	s_delay_alu instid0(VALU_DEP_3) | instskip(SKIP_1) | instid1(VALU_DEP_3)
	v_or_b32_e32 v7, v13, v7
	s_wait_alu 0xf1ff
	v_cndmask_b32_e64 v8, v16, v3, s0
	ds_load_b32 v16, v60 offset:3168
	v_mul_f16_e32 v13, v64, v2
	v_mul_f64_e32 v[2:3], s[6:7], v[11:12]
	v_lshl_or_b32 v11, v15, 12, v0
	v_cmp_gt_i32_e64 s0, 1, v15
	v_and_or_b32 v4, 0x8000, v4, v8
	v_fma_f16 v12, v62, v14, -v13
	v_bfe_u32 v13, v10, 20, 11
	s_wait_alu 0xf1ff
	v_cndmask_b32_e64 v11, v11, v7, s0
	v_cmp_ne_u32_e64 s0, 0, v9
	v_cvt_f32_f16_e32 v7, v12
	v_lshrrev_b32_e32 v12, 8, v10
	v_lshl_or_b32 v4, v4, 16, v18
	v_and_b32_e32 v14, 7, v11
	s_wait_alu 0xf1ff
	v_cndmask_b32_e64 v9, 0, 1, s0
	v_cvt_f64_f32_e32 v[7:8], v7
	v_lshrrev_b32_e32 v11, 2, v11
	v_cmp_lt_i32_e64 s0, 5, v14
	s_delay_alu instid0(VALU_DEP_4)
	v_and_or_b32 v9, 0xffe, v12, v9
	v_sub_nc_u32_e32 v12, 0x3f1, v13
	s_wait_dscnt 0x0
	v_lshrrev_b32_e32 v17, 16, v16
	v_cmp_eq_u32_e64 s1, 3, v14
	v_or_b32_e32 v20, 0x1000, v9
	v_med3_i32 v12, v12, 0, 13
	s_delay_alu instid0(VALU_DEP_4) | instskip(NEXT) | instid1(VALU_DEP_4)
	v_mul_f16_e32 v21, v63, v17
	s_or_b32 s0, s1, s0
	s_wait_alu 0xfffe
	v_add_co_ci_u32_e64 v11, s0, 0, v11, s0
	v_lshrrev_b32_e32 v14, v12, v20
	v_fmac_f16_e32 v21, v61, v16
	v_cmp_ne_u32_e64 s0, 0, v0
	s_delay_alu instid0(VALU_DEP_3) | instskip(NEXT) | instid1(VALU_DEP_3)
	v_lshlrev_b32_e32 v18, v12, v14
	v_cvt_f32_f16_e32 v12, v21
	s_wait_alu 0xf1ff
	s_delay_alu instid0(VALU_DEP_3) | instskip(SKIP_2) | instid1(VALU_DEP_3)
	v_cndmask_b32_e64 v0, 0, 1, s0
	v_cmp_gt_i32_e64 s0, 31, v15
	v_and_or_b32 v2, 0x1ff, v3, v2
	v_lshl_or_b32 v0, v0, 9, 0x7c00
	s_wait_alu 0xf1ff
	s_delay_alu instid0(VALU_DEP_3)
	v_cndmask_b32_e64 v21, 0x7c00, v11, s0
	v_cvt_f64_f32_e32 v[11:12], v12
	v_cmp_ne_u32_e64 s0, v18, v20
	v_add_nc_u32_e32 v20, 0xfffffc10, v13
	v_mul_f16_e32 v13, v63, v16
	v_lshrrev_b32_e32 v16, 8, v3
	s_wait_alu 0xf1ff
	v_cndmask_b32_e64 v18, 0, 1, s0
	v_cmp_ne_u32_e64 s0, 0, v2
	v_fma_f16 v13, v61, v17, -v13
	v_lshl_or_b32 v17, v20, 12, v9
	v_mul_f64_e32 v[7:8], s[6:7], v[7:8]
	v_or_b32_e32 v14, v14, v18
	s_wait_alu 0xf1ff
	v_cndmask_b32_e64 v2, 0, 1, s0
	v_bfe_u32 v18, v3, 20, 11
	v_cmp_gt_i32_e64 s0, 1, v20
	v_cvt_f32_f16_e32 v13, v13
	v_lshrrev_b32_e32 v3, 16, v3
	v_and_or_b32 v2, 0xffe, v16, v2
	v_sub_nc_u32_e32 v16, 0x3f1, v18
	s_wait_alu 0xf1ff
	v_cndmask_b32_e64 v17, v17, v14, s0
	v_cmp_eq_u32_e64 s0, 0x40f, v15
	v_cvt_f64_f32_e32 v[13:14], v13
	v_or_b32_e32 v22, 0x1000, v2
	v_med3_i32 v23, v16, 0, 13
	v_add_nc_u32_e32 v18, 0xfffffc10, v18
	s_wait_alu 0xf1ff
	v_cndmask_b32_e64 v0, v21, v0, s0
	v_and_b32_e32 v21, 7, v17
	v_add_co_u32 v15, s0, v5, s4
	v_lshrrev_b32_e32 v24, v23, v22
	s_wait_alu 0xf1ff
	v_add_co_ci_u32_e64 v16, s0, s5, v6, s0
	v_cmp_lt_i32_e64 s0, 5, v21
	v_cmp_eq_u32_e64 s1, 3, v21
	v_lshrrev_b32_e32 v17, 2, v17
	v_lshlrev_b32_e32 v23, v23, v24
	v_and_or_b32 v25, 0x8000, v1, v0
	s_delay_alu instid0(VALU_DEP_4)
	s_or_b32 s0, s1, s0
	v_mul_f64_e32 v[0:1], s[6:7], v[11:12]
	s_wait_alu 0xfffe
	v_add_co_ci_u32_e64 v11, s0, 0, v17, s0
	v_cmp_ne_u32_e64 s2, v23, v22
	v_cmp_ne_u32_e64 s0, 0, v9
	v_lshl_or_b32 v17, v18, 12, v2
	s_wait_alu 0xf1ff
	s_delay_alu instid0(VALU_DEP_3) | instskip(NEXT) | instid1(VALU_DEP_3)
	v_cndmask_b32_e64 v21, 0, 1, s2
	v_cndmask_b32_e64 v9, 0, 1, s0
	v_cmp_gt_i32_e64 s0, 31, v20
	v_and_or_b32 v7, 0x1ff, v8, v7
	s_delay_alu instid0(VALU_DEP_4) | instskip(NEXT) | instid1(VALU_DEP_4)
	v_or_b32_e32 v12, v24, v21
	v_lshl_or_b32 v9, v9, 9, 0x7c00
	s_wait_alu 0xf1ff
	v_cndmask_b32_e64 v11, 0x7c00, v11, s0
	v_cmp_gt_i32_e64 s0, 1, v18
	v_lshrrev_b32_e32 v21, 8, v8
	s_wait_alu 0xf1ff
	s_delay_alu instid0(VALU_DEP_2) | instskip(SKIP_2) | instid1(VALU_DEP_3)
	v_cndmask_b32_e64 v12, v17, v12, s0
	v_cmp_eq_u32_e64 s0, 0x40f, v20
	v_lshrrev_b32_e32 v17, 16, v10
	v_and_b32_e32 v20, 7, v12
	s_wait_alu 0xf1ff
	s_delay_alu instid0(VALU_DEP_3)
	v_cndmask_b32_e64 v11, v11, v9, s0
	v_cmp_ne_u32_e64 s0, 0, v7
	v_mul_f64_e32 v[9:10], s[6:7], v[13:14]
	v_bfe_u32 v13, v8, 20, 11
	v_cmp_eq_u32_e64 s1, 3, v20
	v_lshrrev_b32_e32 v12, 2, v12
	s_wait_alu 0xf1ff
	v_cndmask_b32_e64 v7, 0, 1, s0
	v_cmp_lt_i32_e64 s0, 5, v20
	v_and_or_b32 v11, 0x8000, v17, v11
	v_and_b32_e32 v14, 0xffff, v25
	v_sub_nc_u32_e32 v17, 0x3f1, v13
	v_and_or_b32 v7, 0xffe, v21, v7
	s_or_b32 s0, s1, s0
	v_and_or_b32 v0, 0x1ff, v1, v0
	s_wait_alu 0xfffe
	v_add_co_ci_u32_e64 v12, s0, 0, v12, s0
	v_lshl_or_b32 v11, v11, 16, v14
	v_or_b32_e32 v14, 0x1000, v7
	v_med3_i32 v17, v17, 0, 13
	v_cmp_ne_u32_e64 s0, 0, v2
	v_lshrrev_b32_e32 v21, 8, v1
	v_bfe_u32 v22, v1, 20, 11
	v_add_nc_u32_e32 v13, 0xfffffc10, v13
	v_lshrrev_b32_e32 v20, v17, v14
	s_wait_alu 0xf1ff
	v_cndmask_b32_e64 v2, 0, 1, s0
	v_cmp_gt_i32_e64 s0, 31, v18
	v_lshrrev_b32_e32 v8, 16, v8
	v_lshrrev_b32_e32 v1, 16, v1
	v_lshlrev_b32_e32 v17, v17, v20
	v_lshl_or_b32 v2, v2, 9, 0x7c00
	s_wait_alu 0xf1ff
	v_cndmask_b32_e64 v12, 0x7c00, v12, s0
	v_cmp_ne_u32_e64 s0, 0, v0
	s_wait_alu 0xf1ff
	s_delay_alu instid0(VALU_DEP_1) | instskip(SKIP_3) | instid1(VALU_DEP_4)
	v_cndmask_b32_e64 v0, 0, 1, s0
	v_cmp_ne_u32_e64 s0, v17, v14
	v_sub_nc_u32_e32 v17, 0x3f1, v22
	v_and_or_b32 v9, 0x1ff, v10, v9
	v_and_or_b32 v0, 0xffe, v21, v0
	s_wait_alu 0xf1ff
	v_cndmask_b32_e64 v14, 0, 1, s0
	v_cmp_eq_u32_e64 s0, 0x40f, v18
	v_med3_i32 v17, v17, 0, 13
	v_bfe_u32 v21, v10, 20, 11
	v_or_b32_e32 v18, 0x1000, v0
	s_wait_alu 0xf1ff
	v_cndmask_b32_e64 v2, v12, v2, s0
	v_or_b32_e32 v12, v20, v14
	v_lshl_or_b32 v14, v13, 12, v7
	v_cmp_gt_i32_e64 s0, 1, v13
	v_lshrrev_b32_e32 v20, 8, v10
	v_and_or_b32 v2, 0x8000, v3, v2
	s_wait_alu 0xf1ff
	s_delay_alu instid0(VALU_DEP_3) | instskip(SKIP_2) | instid1(VALU_DEP_3)
	v_cndmask_b32_e64 v12, v14, v12, s0
	v_lshrrev_b32_e32 v14, v17, v18
	v_cmp_ne_u32_e64 s0, 0, v9
	v_and_b32_e32 v23, 7, v12
	s_delay_alu instid0(VALU_DEP_3) | instskip(SKIP_1) | instid1(VALU_DEP_3)
	v_lshlrev_b32_e32 v17, v17, v14
	s_wait_alu 0xf1ff
	v_cndmask_b32_e64 v9, 0, 1, s0
	v_lshrrev_b32_e32 v12, 2, v12
	v_cmp_lt_i32_e64 s0, 5, v23
	v_cmp_ne_u32_e64 s1, v17, v18
	s_delay_alu instid0(VALU_DEP_4)
	v_and_or_b32 v3, 0xffe, v20, v9
	v_sub_nc_u32_e32 v9, 0x3f1, v21
	v_add_nc_u32_e32 v20, 0xfffffc10, v22
	s_wait_alu 0xf1ff
	v_cndmask_b32_e64 v17, 0, 1, s1
	v_cmp_eq_u32_e64 s1, 3, v23
	v_or_b32_e32 v18, 0x1000, v3
	v_med3_i32 v9, v9, 0, 13
	v_lshl_or_b32 v22, v20, 12, v0
	v_or_b32_e32 v14, v14, v17
	s_or_b32 s0, s1, s0
	s_wait_alu 0xfffe
	v_add_co_ci_u32_e64 v12, s0, 0, v12, s0
	v_lshrrev_b32_e32 v17, v9, v18
	v_cmp_gt_i32_e64 s0, 1, v20
	s_delay_alu instid0(VALU_DEP_2) | instskip(SKIP_1) | instid1(VALU_DEP_2)
	v_lshlrev_b32_e32 v9, v9, v17
	s_wait_alu 0xf1ff
	v_cndmask_b32_e64 v14, v22, v14, s0
	v_cmp_ne_u32_e64 s0, 0, v7
	s_wait_alu 0xf1ff
	s_delay_alu instid0(VALU_DEP_1) | instskip(SKIP_3) | instid1(VALU_DEP_4)
	v_cndmask_b32_e64 v7, 0, 1, s0
	v_cmp_ne_u32_e64 s0, v9, v18
	v_add_nc_u32_e32 v18, 0xfffffc10, v21
	v_and_b32_e32 v21, 7, v14
	v_lshl_or_b32 v7, v7, 9, 0x7c00
	s_wait_alu 0xf1ff
	v_cndmask_b32_e64 v9, 0, 1, s0
	v_cmp_gt_i32_e64 s0, 31, v13
	v_cmp_gt_i32_e64 s2, 1, v18
	v_cmp_eq_u32_e64 s1, 3, v21
	s_delay_alu instid0(VALU_DEP_4) | instskip(SKIP_4) | instid1(VALU_DEP_3)
	v_or_b32_e32 v9, v17, v9
	v_lshl_or_b32 v17, v18, 12, v3
	s_wait_alu 0xf1ff
	v_cndmask_b32_e64 v12, 0x7c00, v12, s0
	v_cmp_lt_i32_e64 s0, 5, v21
	v_cndmask_b32_e64 v9, v17, v9, s2
	v_cmp_eq_u32_e64 s2, 0x40f, v13
	s_delay_alu instid0(VALU_DEP_3) | instskip(NEXT) | instid1(VALU_DEP_2)
	s_or_b32 s0, s1, s0
	v_and_b32_e32 v13, 7, v9
	s_delay_alu instid0(VALU_DEP_2)
	v_cndmask_b32_e64 v7, v12, v7, s2
	v_lshrrev_b32_e32 v12, 2, v14
	v_lshrrev_b32_e32 v9, 2, v9
	v_cmp_gt_i32_e64 s2, 31, v20
	v_cmp_eq_u32_e64 s1, 3, v13
	v_and_or_b32 v7, 0x8000, v8, v7
	s_wait_alu 0xfffe
	v_add_co_ci_u32_e64 v12, s0, 0, v12, s0
	v_cmp_ne_u32_e64 s0, 0, v0
	v_and_b32_e32 v8, 0xffff, v2
	s_wait_alu 0xf1ff
	s_delay_alu instid0(VALU_DEP_3) | instskip(NEXT) | instid1(VALU_DEP_3)
	v_cndmask_b32_e64 v12, 0x7c00, v12, s2
	v_cndmask_b32_e64 v0, 0, 1, s0
	v_cmp_lt_i32_e64 s0, 5, v13
	s_delay_alu instid0(VALU_DEP_2) | instskip(NEXT) | instid1(VALU_DEP_2)
	v_lshl_or_b32 v0, v0, 9, 0x7c00
	s_or_b32 s0, s1, s0
	s_wait_alu 0xfffe
	v_add_co_ci_u32_e64 v9, s0, 0, v9, s0
	v_cmp_ne_u32_e64 s0, 0, v3
	s_wait_alu 0xf1ff
	s_delay_alu instid0(VALU_DEP_1) | instskip(SKIP_1) | instid1(VALU_DEP_2)
	v_cndmask_b32_e64 v3, 0, 1, s0
	v_cmp_eq_u32_e64 s0, 0x40f, v20
	v_lshl_or_b32 v3, v3, 9, 0x7c00
	s_wait_alu 0xf1ff
	s_delay_alu instid0(VALU_DEP_2) | instskip(SKIP_1) | instid1(VALU_DEP_2)
	v_cndmask_b32_e64 v0, v12, v0, s0
	v_cmp_gt_i32_e64 s0, 31, v18
	v_and_or_b32 v0, 0x8000, v1, v0
	s_wait_alu 0xf1ff
	s_delay_alu instid0(VALU_DEP_2) | instskip(SKIP_1) | instid1(VALU_DEP_3)
	v_cndmask_b32_e64 v9, 0x7c00, v9, s0
	v_cmp_eq_u32_e64 s0, 0x40f, v18
	v_and_b32_e32 v0, 0xffff, v0
	s_wait_alu 0xf1ff
	s_delay_alu instid0(VALU_DEP_2)
	v_cndmask_b32_e64 v1, v9, v3, s0
	v_lshrrev_b32_e32 v9, 16, v10
	v_add_co_u32 v2, s0, v15, s8
	s_wait_alu 0xf1ff
	v_add_co_ci_u32_e64 v3, s0, s9, v16, s0
	v_lshl_or_b32 v10, v7, 16, v8
	v_and_or_b32 v1, 0x8000, v9, v1
	v_add_co_u32 v7, s0, v2, s4
	s_wait_alu 0xf1ff
	v_add_co_ci_u32_e64 v8, s0, s5, v3, s0
	s_delay_alu instid0(VALU_DEP_3) | instskip(NEXT) | instid1(VALU_DEP_3)
	v_lshl_or_b32 v9, v1, 16, v0
	v_add_co_u32 v0, s0, v7, s4
	s_wait_alu 0xf1ff
	s_delay_alu instid0(VALU_DEP_3)
	v_add_co_ci_u32_e64 v1, s0, s5, v8, s0
	global_store_b32 v[5:6], v19, off
	global_store_b32 v[15:16], v4, off
	;; [unrolled: 1-line block ×5, first 2 shown]
	s_and_b32 exec_lo, exec_lo, vcc_lo
	s_cbranch_execz .LBB0_31
; %bb.30:
	global_load_b32 v2, v[27:28], off offset:1080
	ds_load_b32 v3, v60 offset:1080
	ds_load_b32 v6, v60 offset:2232
	;; [unrolled: 1-line block ×3, first 2 shown]
	s_wait_dscnt 0x2
	v_lshrrev_b32_e32 v4, 16, v3
	s_wait_loadcnt 0x0
	v_lshrrev_b32_e32 v5, 16, v2
	s_delay_alu instid0(VALU_DEP_1) | instskip(SKIP_1) | instid1(VALU_DEP_2)
	v_mul_f16_e32 v8, v4, v5
	v_mul_f16_e32 v5, v3, v5
	v_fmac_f16_e32 v8, v3, v2
	s_delay_alu instid0(VALU_DEP_2) | instskip(NEXT) | instid1(VALU_DEP_2)
	v_fma_f16 v2, v2, v4, -v5
	v_cvt_f32_f16_e32 v3, v8
	s_delay_alu instid0(VALU_DEP_2) | instskip(NEXT) | instid1(VALU_DEP_2)
	v_cvt_f32_f16_e32 v4, v2
	v_cvt_f64_f32_e32 v[2:3], v3
	s_delay_alu instid0(VALU_DEP_2) | instskip(NEXT) | instid1(VALU_DEP_2)
	v_cvt_f64_f32_e32 v[4:5], v4
	v_mul_f64_e32 v[2:3], s[6:7], v[2:3]
	s_delay_alu instid0(VALU_DEP_2) | instskip(NEXT) | instid1(VALU_DEP_2)
	v_mul_f64_e32 v[4:5], s[6:7], v[4:5]
	v_and_or_b32 v2, 0x1ff, v3, v2
	s_delay_alu instid0(VALU_DEP_2)
	v_and_or_b32 v4, 0x1ff, v5, v4
	v_lshrrev_b32_e32 v8, 8, v3
	v_bfe_u32 v9, v3, 20, 11
	v_lshrrev_b32_e32 v10, 8, v5
	v_cmp_ne_u32_e32 vcc_lo, 0, v2
	v_bfe_u32 v11, v5, 20, 11
	v_lshrrev_b32_e32 v3, 16, v3
	v_sub_nc_u32_e32 v12, 0x3f1, v9
	v_lshrrev_b32_e32 v5, 16, v5
	s_wait_alu 0xfffd
	v_cndmask_b32_e64 v2, 0, 1, vcc_lo
	v_cmp_ne_u32_e32 vcc_lo, 0, v4
	s_delay_alu instid0(VALU_DEP_2) | instskip(SKIP_3) | instid1(VALU_DEP_2)
	v_and_or_b32 v2, 0xffe, v8, v2
	s_wait_alu 0xfffd
	v_cndmask_b32_e64 v4, 0, 1, vcc_lo
	v_sub_nc_u32_e32 v8, 0x3f1, v11
	v_and_or_b32 v4, 0xffe, v10, v4
	v_med3_i32 v10, v12, 0, 13
	v_or_b32_e32 v12, 0x1000, v2
	s_delay_alu instid0(VALU_DEP_4) | instskip(NEXT) | instid1(VALU_DEP_4)
	v_med3_i32 v8, v8, 0, 13
	v_or_b32_e32 v13, 0x1000, v4
	s_delay_alu instid0(VALU_DEP_3) | instskip(NEXT) | instid1(VALU_DEP_2)
	v_lshrrev_b32_e32 v14, v10, v12
	v_lshrrev_b32_e32 v15, v8, v13
	s_delay_alu instid0(VALU_DEP_2) | instskip(NEXT) | instid1(VALU_DEP_2)
	v_lshlrev_b32_e32 v10, v10, v14
	v_lshlrev_b32_e32 v8, v8, v15
	s_delay_alu instid0(VALU_DEP_2) | instskip(SKIP_2) | instid1(VALU_DEP_3)
	v_cmp_ne_u32_e32 vcc_lo, v10, v12
	s_wait_alu 0xfffd
	v_cndmask_b32_e64 v10, 0, 1, vcc_lo
	v_cmp_ne_u32_e32 vcc_lo, v8, v13
	s_delay_alu instid0(VALU_DEP_2) | instskip(SKIP_3) | instid1(VALU_DEP_2)
	v_or_b32_e32 v10, v14, v10
	v_add_nc_u32_e32 v9, 0xfffffc10, v9
	s_wait_alu 0xfffd
	v_cndmask_b32_e64 v8, 0, 1, vcc_lo
	v_lshl_or_b32 v12, v9, 12, v2
	s_delay_alu instid0(VALU_DEP_2) | instskip(SKIP_2) | instid1(VALU_DEP_2)
	v_or_b32_e32 v8, v15, v8
	v_add_nc_u32_e32 v11, 0xfffffc10, v11
	v_cmp_gt_i32_e32 vcc_lo, 1, v9
	v_lshl_or_b32 v13, v11, 12, v4
	s_wait_alu 0xfffd
	v_cndmask_b32_e32 v10, v12, v10, vcc_lo
	v_cmp_gt_i32_e32 vcc_lo, 1, v11
	s_delay_alu instid0(VALU_DEP_2)
	v_and_b32_e32 v12, 7, v10
	s_wait_alu 0xfffd
	v_cndmask_b32_e32 v8, v13, v8, vcc_lo
	v_cmp_ne_u32_e32 vcc_lo, 0, v2
	v_lshrrev_b32_e32 v10, 2, v10
	v_cmp_eq_u32_e64 s0, 3, v12
	s_wait_alu 0xfffd
	v_cndmask_b32_e64 v2, 0, 1, vcc_lo
	v_cmp_ne_u32_e32 vcc_lo, 0, v4
	s_delay_alu instid0(VALU_DEP_2) | instskip(SKIP_3) | instid1(VALU_DEP_2)
	v_lshl_or_b32 v2, v2, 9, 0x7c00
	s_wait_alu 0xfffd
	v_cndmask_b32_e64 v4, 0, 1, vcc_lo
	v_cmp_lt_i32_e32 vcc_lo, 5, v12
	v_lshl_or_b32 v4, v4, 9, 0x7c00
	s_or_b32 vcc_lo, s0, vcc_lo
	s_wait_alu 0xfffe
	v_add_co_ci_u32_e32 v10, vcc_lo, 0, v10, vcc_lo
	v_and_b32_e32 v13, 7, v8
	v_lshrrev_b32_e32 v8, 2, v8
	s_delay_alu instid0(VALU_DEP_2) | instskip(SKIP_1) | instid1(VALU_DEP_1)
	v_cmp_lt_i32_e64 s1, 5, v13
	v_cmp_eq_u32_e64 s2, 3, v13
	s_or_b32 vcc_lo, s2, s1
	s_wait_alu 0xfffe
	v_add_co_ci_u32_e32 v8, vcc_lo, 0, v8, vcc_lo
	v_cmp_gt_i32_e32 vcc_lo, 31, v9
	s_wait_alu 0xfffd
	v_cndmask_b32_e32 v10, 0x7c00, v10, vcc_lo
	v_cmp_gt_i32_e32 vcc_lo, 31, v11
	s_wait_alu 0xfffd
	v_cndmask_b32_e32 v8, 0x7c00, v8, vcc_lo
	v_cmp_eq_u32_e32 vcc_lo, 0x40f, v9
	s_wait_alu 0xfffd
	v_cndmask_b32_e32 v2, v10, v2, vcc_lo
	v_cmp_eq_u32_e32 vcc_lo, 0x40f, v11
	s_delay_alu instid0(VALU_DEP_2)
	v_and_or_b32 v2, 0x8000, v3, v2
	s_wait_alu 0xfffd
	v_cndmask_b32_e32 v4, v8, v4, vcc_lo
	v_add_co_u32 v0, vcc_lo, v0, s8
	s_wait_alu 0xfffd
	v_add_co_ci_u32_e32 v1, vcc_lo, s9, v1, vcc_lo
	s_delay_alu instid0(VALU_DEP_3) | instskip(SKIP_1) | instid1(VALU_DEP_1)
	v_and_or_b32 v3, 0x8000, v5, v4
	v_and_b32_e32 v2, 0xffff, v2
	v_lshl_or_b32 v2, v3, 16, v2
	s_wait_dscnt 0x1
	v_lshrrev_b32_e32 v3, 16, v6
	global_store_b32 v[0:1], v2, off
	global_load_b32 v2, v[27:28], off offset:2232
	s_wait_loadcnt 0x0
	v_lshrrev_b32_e32 v4, 16, v2
	s_delay_alu instid0(VALU_DEP_1) | instskip(SKIP_1) | instid1(VALU_DEP_2)
	v_mul_f16_e32 v5, v3, v4
	v_mul_f16_e32 v4, v6, v4
	v_fmac_f16_e32 v5, v6, v2
	s_delay_alu instid0(VALU_DEP_2) | instskip(NEXT) | instid1(VALU_DEP_2)
	v_fma_f16 v2, v2, v3, -v4
	v_cvt_f32_f16_e32 v3, v5
	s_delay_alu instid0(VALU_DEP_2) | instskip(NEXT) | instid1(VALU_DEP_2)
	v_cvt_f32_f16_e32 v4, v2
	v_cvt_f64_f32_e32 v[2:3], v3
	s_delay_alu instid0(VALU_DEP_2) | instskip(NEXT) | instid1(VALU_DEP_2)
	v_cvt_f64_f32_e32 v[4:5], v4
	v_mul_f64_e32 v[2:3], s[6:7], v[2:3]
	s_delay_alu instid0(VALU_DEP_2) | instskip(NEXT) | instid1(VALU_DEP_2)
	v_mul_f64_e32 v[4:5], s[6:7], v[4:5]
	v_and_or_b32 v2, 0x1ff, v3, v2
	s_delay_alu instid0(VALU_DEP_2)
	v_and_or_b32 v4, 0x1ff, v5, v4
	v_lshrrev_b32_e32 v6, 8, v3
	v_bfe_u32 v8, v3, 20, 11
	v_lshrrev_b32_e32 v9, 8, v5
	v_cmp_ne_u32_e32 vcc_lo, 0, v2
	v_bfe_u32 v10, v5, 20, 11
	v_lshrrev_b32_e32 v3, 16, v3
	v_sub_nc_u32_e32 v11, 0x3f1, v8
	v_add_nc_u32_e32 v8, 0xfffffc10, v8
	s_wait_alu 0xfffd
	v_cndmask_b32_e64 v2, 0, 1, vcc_lo
	v_cmp_ne_u32_e32 vcc_lo, 0, v4
	v_lshrrev_b32_e32 v5, 16, v5
	s_delay_alu instid0(VALU_DEP_3) | instskip(SKIP_4) | instid1(VALU_DEP_3)
	v_and_or_b32 v2, 0xffe, v6, v2
	s_wait_alu 0xfffd
	v_cndmask_b32_e64 v4, 0, 1, vcc_lo
	v_sub_nc_u32_e32 v6, 0x3f1, v10
	v_add_nc_u32_e32 v10, 0xfffffc10, v10
	v_and_or_b32 v4, 0xffe, v9, v4
	v_med3_i32 v9, v11, 0, 13
	v_or_b32_e32 v11, 0x1000, v2
	v_med3_i32 v6, v6, 0, 13
	s_delay_alu instid0(VALU_DEP_4) | instskip(NEXT) | instid1(VALU_DEP_3)
	v_or_b32_e32 v12, 0x1000, v4
	v_lshrrev_b32_e32 v13, v9, v11
	s_delay_alu instid0(VALU_DEP_2) | instskip(NEXT) | instid1(VALU_DEP_2)
	v_lshrrev_b32_e32 v14, v6, v12
	v_lshlrev_b32_e32 v9, v9, v13
	s_delay_alu instid0(VALU_DEP_2) | instskip(NEXT) | instid1(VALU_DEP_2)
	v_lshlrev_b32_e32 v6, v6, v14
	v_cmp_ne_u32_e32 vcc_lo, v9, v11
	v_lshl_or_b32 v11, v8, 12, v2
	s_wait_alu 0xfffd
	v_cndmask_b32_e64 v9, 0, 1, vcc_lo
	v_cmp_ne_u32_e32 vcc_lo, v6, v12
	v_lshl_or_b32 v12, v10, 12, v4
	s_delay_alu instid0(VALU_DEP_3) | instskip(SKIP_3) | instid1(VALU_DEP_2)
	v_or_b32_e32 v9, v13, v9
	s_wait_alu 0xfffd
	v_cndmask_b32_e64 v6, 0, 1, vcc_lo
	v_cmp_gt_i32_e32 vcc_lo, 1, v8
	v_or_b32_e32 v6, v14, v6
	s_wait_alu 0xfffd
	v_cndmask_b32_e32 v9, v11, v9, vcc_lo
	v_cmp_gt_i32_e32 vcc_lo, 1, v10
	s_wait_alu 0xfffd
	s_delay_alu instid0(VALU_DEP_2) | instskip(SKIP_2) | instid1(VALU_DEP_3)
	v_dual_cndmask_b32 v6, v12, v6 :: v_dual_and_b32 v11, 7, v9
	v_cmp_ne_u32_e32 vcc_lo, 0, v2
	v_lshrrev_b32_e32 v9, 2, v9
	v_cmp_eq_u32_e64 s0, 3, v11
	s_delay_alu instid0(VALU_DEP_4)
	v_and_b32_e32 v12, 7, v6
	s_wait_alu 0xfffd
	v_cndmask_b32_e64 v2, 0, 1, vcc_lo
	v_cmp_ne_u32_e32 vcc_lo, 0, v4
	v_lshrrev_b32_e32 v6, 2, v6
	v_cmp_lt_i32_e64 s1, 5, v12
	v_cmp_eq_u32_e64 s2, 3, v12
	s_wait_alu 0xfffd
	v_cndmask_b32_e64 v4, 0, 1, vcc_lo
	v_cmp_lt_i32_e32 vcc_lo, 5, v11
	v_lshl_or_b32 v2, v2, 9, 0x7c00
	s_delay_alu instid0(VALU_DEP_3)
	v_lshl_or_b32 v4, v4, 9, 0x7c00
	s_or_b32 vcc_lo, s0, vcc_lo
	s_wait_alu 0xfffe
	v_add_co_ci_u32_e32 v9, vcc_lo, 0, v9, vcc_lo
	s_or_b32 vcc_lo, s2, s1
	s_wait_alu 0xfffe
	v_add_co_ci_u32_e32 v6, vcc_lo, 0, v6, vcc_lo
	v_cmp_gt_i32_e32 vcc_lo, 31, v8
	s_wait_alu 0xfffd
	v_cndmask_b32_e32 v9, 0x7c00, v9, vcc_lo
	v_cmp_gt_i32_e32 vcc_lo, 31, v10
	s_wait_alu 0xfffd
	v_cndmask_b32_e32 v6, 0x7c00, v6, vcc_lo
	v_cmp_eq_u32_e32 vcc_lo, 0x40f, v8
	s_wait_alu 0xfffd
	v_cndmask_b32_e32 v2, v9, v2, vcc_lo
	v_cmp_eq_u32_e32 vcc_lo, 0x40f, v10
	s_delay_alu instid0(VALU_DEP_2)
	v_and_or_b32 v2, 0x8000, v3, v2
	s_wait_alu 0xfffd
	v_cndmask_b32_e32 v4, v6, v4, vcc_lo
	v_add_co_u32 v0, vcc_lo, v0, s4
	s_wait_alu 0xfffd
	v_add_co_ci_u32_e32 v1, vcc_lo, s5, v1, vcc_lo
	s_delay_alu instid0(VALU_DEP_3) | instskip(SKIP_1) | instid1(VALU_DEP_1)
	v_and_or_b32 v3, 0x8000, v5, v4
	v_and_b32_e32 v2, 0xffff, v2
	v_lshl_or_b32 v2, v3, 16, v2
	s_wait_dscnt 0x0
	v_lshrrev_b32_e32 v3, 16, v7
	global_store_b32 v[0:1], v2, off
	global_load_b32 v2, v[27:28], off offset:3384
	s_wait_loadcnt 0x0
	v_lshrrev_b32_e32 v4, 16, v2
	s_delay_alu instid0(VALU_DEP_1) | instskip(SKIP_1) | instid1(VALU_DEP_2)
	v_mul_f16_e32 v5, v3, v4
	v_mul_f16_e32 v4, v7, v4
	v_fmac_f16_e32 v5, v7, v2
	s_delay_alu instid0(VALU_DEP_2) | instskip(NEXT) | instid1(VALU_DEP_2)
	v_fma_f16 v2, v2, v3, -v4
	v_cvt_f32_f16_e32 v3, v5
	s_delay_alu instid0(VALU_DEP_2) | instskip(NEXT) | instid1(VALU_DEP_2)
	v_cvt_f32_f16_e32 v4, v2
	v_cvt_f64_f32_e32 v[2:3], v3
	s_delay_alu instid0(VALU_DEP_2) | instskip(NEXT) | instid1(VALU_DEP_2)
	v_cvt_f64_f32_e32 v[4:5], v4
	v_mul_f64_e32 v[2:3], s[6:7], v[2:3]
	s_delay_alu instid0(VALU_DEP_2) | instskip(NEXT) | instid1(VALU_DEP_2)
	v_mul_f64_e32 v[4:5], s[6:7], v[4:5]
	v_and_or_b32 v2, 0x1ff, v3, v2
	s_delay_alu instid0(VALU_DEP_2)
	v_and_or_b32 v4, 0x1ff, v5, v4
	v_lshrrev_b32_e32 v6, 8, v3
	v_bfe_u32 v7, v3, 20, 11
	v_lshrrev_b32_e32 v8, 8, v5
	v_cmp_ne_u32_e32 vcc_lo, 0, v2
	v_bfe_u32 v9, v5, 20, 11
	v_lshrrev_b32_e32 v3, 16, v3
	v_sub_nc_u32_e32 v10, 0x3f1, v7
	v_add_nc_u32_e32 v7, 0xfffffc10, v7
	s_wait_alu 0xfffd
	v_cndmask_b32_e64 v2, 0, 1, vcc_lo
	v_cmp_ne_u32_e32 vcc_lo, 0, v4
	v_lshrrev_b32_e32 v5, 16, v5
	s_delay_alu instid0(VALU_DEP_3) | instskip(SKIP_4) | instid1(VALU_DEP_3)
	v_and_or_b32 v2, 0xffe, v6, v2
	s_wait_alu 0xfffd
	v_cndmask_b32_e64 v4, 0, 1, vcc_lo
	v_sub_nc_u32_e32 v6, 0x3f1, v9
	v_add_nc_u32_e32 v9, 0xfffffc10, v9
	v_and_or_b32 v4, 0xffe, v8, v4
	v_med3_i32 v8, v10, 0, 13
	v_or_b32_e32 v10, 0x1000, v2
	v_med3_i32 v6, v6, 0, 13
	s_delay_alu instid0(VALU_DEP_4) | instskip(NEXT) | instid1(VALU_DEP_3)
	v_or_b32_e32 v11, 0x1000, v4
	v_lshrrev_b32_e32 v12, v8, v10
	s_delay_alu instid0(VALU_DEP_2) | instskip(NEXT) | instid1(VALU_DEP_2)
	v_lshrrev_b32_e32 v13, v6, v11
	v_lshlrev_b32_e32 v8, v8, v12
	s_delay_alu instid0(VALU_DEP_2) | instskip(NEXT) | instid1(VALU_DEP_2)
	v_lshlrev_b32_e32 v6, v6, v13
	v_cmp_ne_u32_e32 vcc_lo, v8, v10
	v_lshl_or_b32 v10, v7, 12, v2
	s_wait_alu 0xfffd
	v_cndmask_b32_e64 v8, 0, 1, vcc_lo
	v_cmp_ne_u32_e32 vcc_lo, v6, v11
	v_lshl_or_b32 v11, v9, 12, v4
	s_delay_alu instid0(VALU_DEP_3) | instskip(SKIP_3) | instid1(VALU_DEP_2)
	v_or_b32_e32 v8, v12, v8
	s_wait_alu 0xfffd
	v_cndmask_b32_e64 v6, 0, 1, vcc_lo
	v_cmp_gt_i32_e32 vcc_lo, 1, v7
	v_or_b32_e32 v6, v13, v6
	s_wait_alu 0xfffd
	v_cndmask_b32_e32 v8, v10, v8, vcc_lo
	v_cmp_gt_i32_e32 vcc_lo, 1, v9
	s_delay_alu instid0(VALU_DEP_2)
	v_and_b32_e32 v10, 7, v8
	s_wait_alu 0xfffd
	v_cndmask_b32_e32 v6, v11, v6, vcc_lo
	v_cmp_ne_u32_e32 vcc_lo, 0, v2
	v_lshrrev_b32_e32 v8, 2, v8
	v_cmp_eq_u32_e64 s0, 3, v10
	s_delay_alu instid0(VALU_DEP_4)
	v_and_b32_e32 v11, 7, v6
	s_wait_alu 0xfffd
	v_cndmask_b32_e64 v2, 0, 1, vcc_lo
	v_cmp_ne_u32_e32 vcc_lo, 0, v4
	v_lshrrev_b32_e32 v6, 2, v6
	v_cmp_lt_i32_e64 s1, 5, v11
	v_cmp_eq_u32_e64 s2, 3, v11
	s_wait_alu 0xfffd
	v_cndmask_b32_e64 v4, 0, 1, vcc_lo
	v_cmp_lt_i32_e32 vcc_lo, 5, v10
	v_lshl_or_b32 v2, v2, 9, 0x7c00
	s_delay_alu instid0(VALU_DEP_3)
	v_lshl_or_b32 v4, v4, 9, 0x7c00
	s_or_b32 vcc_lo, s0, vcc_lo
	s_wait_alu 0xfffe
	v_add_co_ci_u32_e32 v8, vcc_lo, 0, v8, vcc_lo
	s_or_b32 vcc_lo, s2, s1
	s_wait_alu 0xfffe
	v_add_co_ci_u32_e32 v6, vcc_lo, 0, v6, vcc_lo
	v_cmp_gt_i32_e32 vcc_lo, 31, v7
	s_wait_alu 0xfffd
	v_cndmask_b32_e32 v8, 0x7c00, v8, vcc_lo
	v_cmp_gt_i32_e32 vcc_lo, 31, v9
	s_wait_alu 0xfffd
	v_cndmask_b32_e32 v6, 0x7c00, v6, vcc_lo
	v_cmp_eq_u32_e32 vcc_lo, 0x40f, v7
	s_wait_alu 0xfffd
	v_cndmask_b32_e32 v2, v8, v2, vcc_lo
	v_cmp_eq_u32_e32 vcc_lo, 0x40f, v9
	s_delay_alu instid0(VALU_DEP_2)
	v_and_or_b32 v2, 0x8000, v3, v2
	s_wait_alu 0xfffd
	v_cndmask_b32_e32 v4, v6, v4, vcc_lo
	v_add_co_u32 v0, vcc_lo, v0, s4
	s_wait_alu 0xfffd
	v_add_co_ci_u32_e32 v1, vcc_lo, s5, v1, vcc_lo
	s_delay_alu instid0(VALU_DEP_3) | instskip(SKIP_1) | instid1(VALU_DEP_1)
	v_and_or_b32 v3, 0x8000, v5, v4
	v_and_b32_e32 v2, 0xffff, v2
	v_lshl_or_b32 v2, v3, 16, v2
	global_store_b32 v[0:1], v2, off
.LBB0_31:
	s_nop 0
	s_sendmsg sendmsg(MSG_DEALLOC_VGPRS)
	s_endpgm
	.section	.rodata,"a",@progbits
	.p2align	6, 0x0
	.amdhsa_kernel bluestein_single_back_len864_dim1_half_op_CI_CI
		.amdhsa_group_segment_fixed_size 3456
		.amdhsa_private_segment_fixed_size 0
		.amdhsa_kernarg_size 104
		.amdhsa_user_sgpr_count 2
		.amdhsa_user_sgpr_dispatch_ptr 0
		.amdhsa_user_sgpr_queue_ptr 0
		.amdhsa_user_sgpr_kernarg_segment_ptr 1
		.amdhsa_user_sgpr_dispatch_id 0
		.amdhsa_user_sgpr_private_segment_size 0
		.amdhsa_wavefront_size32 1
		.amdhsa_uses_dynamic_stack 0
		.amdhsa_enable_private_segment 0
		.amdhsa_system_sgpr_workgroup_id_x 1
		.amdhsa_system_sgpr_workgroup_id_y 0
		.amdhsa_system_sgpr_workgroup_id_z 0
		.amdhsa_system_sgpr_workgroup_info 0
		.amdhsa_system_vgpr_workitem_id 0
		.amdhsa_next_free_vgpr 205
		.amdhsa_next_free_sgpr 18
		.amdhsa_reserve_vcc 1
		.amdhsa_float_round_mode_32 0
		.amdhsa_float_round_mode_16_64 0
		.amdhsa_float_denorm_mode_32 3
		.amdhsa_float_denorm_mode_16_64 3
		.amdhsa_fp16_overflow 0
		.amdhsa_workgroup_processor_mode 1
		.amdhsa_memory_ordered 1
		.amdhsa_forward_progress 0
		.amdhsa_round_robin_scheduling 0
		.amdhsa_exception_fp_ieee_invalid_op 0
		.amdhsa_exception_fp_denorm_src 0
		.amdhsa_exception_fp_ieee_div_zero 0
		.amdhsa_exception_fp_ieee_overflow 0
		.amdhsa_exception_fp_ieee_underflow 0
		.amdhsa_exception_fp_ieee_inexact 0
		.amdhsa_exception_int_div_zero 0
	.end_amdhsa_kernel
	.text
.Lfunc_end0:
	.size	bluestein_single_back_len864_dim1_half_op_CI_CI, .Lfunc_end0-bluestein_single_back_len864_dim1_half_op_CI_CI
                                        ; -- End function
	.section	.AMDGPU.csdata,"",@progbits
; Kernel info:
; codeLenInByte = 29440
; NumSgprs: 20
; NumVgprs: 205
; ScratchSize: 0
; MemoryBound: 0
; FloatMode: 240
; IeeeMode: 1
; LDSByteSize: 3456 bytes/workgroup (compile time only)
; SGPRBlocks: 2
; VGPRBlocks: 25
; NumSGPRsForWavesPerEU: 20
; NumVGPRsForWavesPerEU: 205
; Occupancy: 7
; WaveLimiterHint : 1
; COMPUTE_PGM_RSRC2:SCRATCH_EN: 0
; COMPUTE_PGM_RSRC2:USER_SGPR: 2
; COMPUTE_PGM_RSRC2:TRAP_HANDLER: 0
; COMPUTE_PGM_RSRC2:TGID_X_EN: 1
; COMPUTE_PGM_RSRC2:TGID_Y_EN: 0
; COMPUTE_PGM_RSRC2:TGID_Z_EN: 0
; COMPUTE_PGM_RSRC2:TIDIG_COMP_CNT: 0
	.text
	.p2alignl 7, 3214868480
	.fill 96, 4, 3214868480
	.type	__hip_cuid_5c0b9beef43a194d,@object ; @__hip_cuid_5c0b9beef43a194d
	.section	.bss,"aw",@nobits
	.globl	__hip_cuid_5c0b9beef43a194d
__hip_cuid_5c0b9beef43a194d:
	.byte	0                               ; 0x0
	.size	__hip_cuid_5c0b9beef43a194d, 1

	.ident	"AMD clang version 19.0.0git (https://github.com/RadeonOpenCompute/llvm-project roc-6.4.0 25133 c7fe45cf4b819c5991fe208aaa96edf142730f1d)"
	.section	".note.GNU-stack","",@progbits
	.addrsig
	.addrsig_sym __hip_cuid_5c0b9beef43a194d
	.amdgpu_metadata
---
amdhsa.kernels:
  - .args:
      - .actual_access:  read_only
        .address_space:  global
        .offset:         0
        .size:           8
        .value_kind:     global_buffer
      - .actual_access:  read_only
        .address_space:  global
        .offset:         8
        .size:           8
        .value_kind:     global_buffer
      - .actual_access:  read_only
        .address_space:  global
        .offset:         16
        .size:           8
        .value_kind:     global_buffer
      - .actual_access:  read_only
        .address_space:  global
        .offset:         24
        .size:           8
        .value_kind:     global_buffer
      - .actual_access:  read_only
        .address_space:  global
        .offset:         32
        .size:           8
        .value_kind:     global_buffer
      - .offset:         40
        .size:           8
        .value_kind:     by_value
      - .address_space:  global
        .offset:         48
        .size:           8
        .value_kind:     global_buffer
      - .address_space:  global
        .offset:         56
        .size:           8
        .value_kind:     global_buffer
      - .address_space:  global
        .offset:         64
        .size:           8
        .value_kind:     global_buffer
      - .address_space:  global
        .offset:         72
        .size:           8
        .value_kind:     global_buffer
      - .offset:         80
        .size:           4
        .value_kind:     by_value
      - .address_space:  global
        .offset:         88
        .size:           8
        .value_kind:     global_buffer
      - .address_space:  global
        .offset:         96
        .size:           8
        .value_kind:     global_buffer
    .group_segment_fixed_size: 3456
    .kernarg_segment_align: 8
    .kernarg_segment_size: 104
    .language:       OpenCL C
    .language_version:
      - 2
      - 0
    .max_flat_workgroup_size: 54
    .name:           bluestein_single_back_len864_dim1_half_op_CI_CI
    .private_segment_fixed_size: 0
    .sgpr_count:     20
    .sgpr_spill_count: 0
    .symbol:         bluestein_single_back_len864_dim1_half_op_CI_CI.kd
    .uniform_work_group_size: 1
    .uses_dynamic_stack: false
    .vgpr_count:     205
    .vgpr_spill_count: 0
    .wavefront_size: 32
    .workgroup_processor_mode: 1
amdhsa.target:   amdgcn-amd-amdhsa--gfx1201
amdhsa.version:
  - 1
  - 2
...

	.end_amdgpu_metadata
